;; amdgpu-corpus repo=ROCm/aiter kind=harvested arch=n/a opt=n/a

/root/src/amdgpu-assembly/repos/ROCm__aiter/hsa/gfx942/fmha_v3_fwd/MI300/fwd_hd128_bf16_causal_rtz.co:	file format elf64-amdgpu

Disassembly of section .text:

0000000000003300 <_ZN5aiter30fmha_fwd_hd128_bf16_causal_rtzE>:
	s_and_b32 s1, s1, 0xffff                                   // 000000003300: 8601FF01 0000FFFF
	s_load_dwordx2 s[20:21], s[0:1], 0x0                       // 000000003308: C0060500 00000000
	s_load_dwordx2 s[8:9], s[0:1], 0x10                        // 000000003310: C0060200 00000010
	s_load_dwordx2 s[12:13], s[0:1], 0x20                      // 000000003318: C0060300 00000020
	s_load_dwordx2 s[16:17], s[0:1], 0x30                      // 000000003320: C0060400 00000030
	s_load_dwordx2 s[24:25], s[0:1], 0x40                      // 000000003328: C0060600 00000040
	s_load_dword s28, s[0:1], 0x50                             // 000000003330: C0020700 00000050
	s_load_dword s30, s[0:1], 0x60                             // 000000003338: C0020780 00000060
	s_load_dword s62, s[0:1], 0x70                             // 000000003340: C0020F80 00000070
	s_load_dword s31, s[0:1], 0x80                             // 000000003348: C00207C0 00000080
	s_load_dword s32, s[0:1], 0x90                             // 000000003350: C0020800 00000090
	s_load_dword s33, s[0:1], 0xa0                             // 000000003358: C0020840 000000A0
	s_load_dword s46, s[0:1], 0xb0                             // 000000003360: C0020B80 000000B0
	s_load_dword s61, s[0:1], 0xc0                             // 000000003368: C0020F40 000000C0
	s_load_dword s47, s[0:1], 0xd0                             // 000000003370: C0020BC0 000000D0
	s_load_dword s48, s[0:1], 0xe0                             // 000000003378: C0020C00 000000E0
	s_load_dword s34, s[0:1], 0xf0                             // 000000003380: C0020880 000000F0
	s_load_dword s37, s[0:1], 0x100                            // 000000003388: C0020940 00000100
	s_load_dword s7, s[0:1], 0x110                             // 000000003390: C00201C0 00000110
	s_load_dword s96, s[0:1], 0x140                            // 000000003398: C0021800 00000140
	s_load_dword s80, s[0:1], 0x150                            // 0000000033A0: C0021400 00000150
	s_load_dword s81, s[0:1], 0x160                            // 0000000033A8: C0021440 00000160
	s_load_dword s82, s[0:1], 0x170                            // 0000000033B0: C0021480 00000170
	s_load_dword s83, s[0:1], 0x180                            // 0000000033B8: C00214C0 00000180
	s_load_dword s84, s[0:1], 0x190                            // 0000000033C0: C0021500 00000190
	s_load_dword s85, s[0:1], 0x1a0                            // 0000000033C8: C0021540 000001A0
	s_load_dwordx2 s[76:77], s[0:1], 0x1b0                     // 0000000033D0: C0061300 000001B0
	s_load_dwordx2 s[78:79], s[0:1], 0x1c0                     // 0000000033D8: C0061380 000001C0
	s_load_dword s86, s[0:1], 0x1d0                            // 0000000033E0: C0021580 000001D0
	s_load_dwordx2 s[88:89], s[0:1], 0x1e0                     // 0000000033E8: C0061600 000001E0
	s_load_dwordx2 s[90:91], s[0:1], 0x1f0                     // 0000000033F0: C0061680 000001F0
	v_lshrrev_b32_e32 v1, 10, v0                               // 0000000033F8: 2002008A
	v_lshrrev_b32_e32 v2, 10, v1                               // 0000000033FC: 2004028A
	v_and_b32_e32 v2, 0x3ff, v2                                // 000000003400: 260404FF 000003FF
	v_and_b32_e32 v1, 0x3ff, v1                                // 000000003408: 260202FF 000003FF
	v_and_b32_e32 v0, 0x3ff, v0                                // 000000003410: 260000FF 000003FF
	v_lshrrev_b32_e32 v3, 6, v0                                // 000000003418: 20060086
	v_and_b32_e32 v0, 63, v0                                   // 00000000341C: 260000BF
	s_mov_b32 s2, s2                                           // 000000003420: BE820002
	s_mov_b32 s3, s3                                           // 000000003424: BE830003
	s_mov_b32 s4, s4                                           // 000000003428: BE840004
	v_readfirstlane_b32 s5, v3                                 // 00000000342C: 7E0A0503
	s_waitcnt lgkmcnt(0)                                       // 000000003430: BF8CC07F
	s_nop 0                                                    // 000000003434: BF800000
	s_lshr_b32 s40, s34, 1                                     // 000000003438: 8F288122
	s_and_b32 s40, 3, s40                                      // 00000000343C: 86282883
	s_cmp_lt_u32 s40, 1                                        // 000000003440: BF0A8128
	s_cbranch_scc1 label_006E                                  // 000000003444: BF85001C
	s_add_u32 s41, s30, 0xff                                   // 000000003448: 8029FF1E 000000FF
	s_lshr_b32 s41, s41, 8                                     // 000000003450: 8F298829
	s_add_u32 s41, s41, 1                                      // 000000003454: 80298129
	s_lshr_b32 s6, s41, 1                                      // 000000003458: 8F068129
	s_cmp_eq_u32 s40, 2                                        // 00000000345C: BF068228
	s_cbranch_scc1 label_0061                                  // 000000003460: BF850008
	s_lshr_b32 s41, s6, 3                                      // 000000003464: 8F298306
	s_lshr_b32 s42, s2, 3                                      // 000000003468: 8F2A8302
	s_and_b32 s40, s2, 7                                       // 00000000346C: 86288702
	s_mul_i32 s40, s40, s41                                    // 000000003470: 92282928
	s_add_u32 s40, s42, s40                                    // 000000003474: 8028282A
	s_cmp_lt_i32 s42, s41                                      // 000000003478: BF04292A
	s_cselect_b32 s2, s40, s2                                  // 00000000347C: 85020228
	s_branch label_006E                                        // 000000003480: BF82000D

0000000000003484 <label_0061>:
	s_and_b32 s40, s3, 7                                       // 000000003484: 86288703
	s_mul_i32 s40, s40, s6                                     // 000000003488: 92280628
	s_add_u32 s40, s40, s2                                     // 00000000348C: 80280228
	s_and_b32 s41, s40, 7                                      // 000000003490: 86298728
	s_lshr_b32 s2, s40, 3                                      // 000000003494: 8F028328
	s_and_b32 s3, s3, -8                                       // 000000003498: 8603C803
	s_add_u32 s3, s3, s41                                      // 00000000349C: 80032903
	s_nop 0                                                    // 0000000034A0: BF800000
	s_nop 0                                                    // 0000000034A4: BF800000
	s_nop 0                                                    // 0000000034A8: BF800000
	s_nop 0                                                    // 0000000034AC: BF800000
	s_nop 0                                                    // 0000000034B0: BF800000
	s_nop 0                                                    // 0000000034B4: BF800000

00000000000034b8 <label_006E>:
	s_mul_i32 s40, s30, s62                                    // 0000000034B8: 92283E1E
	s_mov_b32 s10, s40                                         // 0000000034BC: BE8A0028
	s_mul_i32 s40, s30, s83                                    // 0000000034C0: 9228531E
	s_mov_b32 s22, s40                                         // 0000000034C4: BE960028
	s_mul_i32 s40, s7, s61                                     // 0000000034C8: 92283D07
	s_mov_b32 s14, s40                                         // 0000000034CC: BE8E0028
	s_mul_i32 s40, s7, s80                                     // 0000000034D0: 92285007
	s_mov_b32 s18, s40                                         // 0000000034D4: BE920028
	s_mul_i32 s40, s30, 4                                      // 0000000034D8: 9228841E
	s_mov_b32 s26, s40                                         // 0000000034DC: BE9A0028
	s_mov_b32 s23, 0x20000                                     // 0000000034E0: BE9700FF 00020000
	s_mov_b32 s11, 0x20000                                     // 0000000034E8: BE8B00FF 00020000
	s_mov_b32 s15, 0x20000                                     // 0000000034F0: BE8F00FF 00020000
	s_mov_b32 s19, 0x20000                                     // 0000000034F8: BE9300FF 00020000
	s_mov_b32 s27, 0x20000                                     // 000000003500: BE9B00FF 00020000
	s_and_b32 s21, s21, 0xffff                                 // 000000003508: 8615FF15 0000FFFF
	s_and_b32 s9, s9, 0xffff                                   // 000000003510: 8609FF09 0000FFFF
	s_and_b32 s13, s13, 0xffff                                 // 000000003518: 860DFF0D 0000FFFF
	s_and_b32 s17, s17, 0xffff                                 // 000000003520: 8611FF11 0000FFFF
	s_and_b32 s25, s25, 0xffff                                 // 000000003528: 8619FF19 0000FFFF
	s_nop 0                                                    // 000000003530: BF800000
	s_nop 0                                                    // 000000003534: BF800000
	s_mov_b32 s64, s3                                          // 000000003538: BEC00003
	s_mov_b32 s65, s46                                         // 00000000353C: BEC1002E
	v_cvt_f32_u32_e32 v16, s65                                 // 000000003540: 7E200C41
	s_sub_i32 s40, 0, s65                                      // 000000003544: 81A84180
	v_rcp_iflag_f32_e32 v16, v16                               // 000000003548: 7E204710
	s_nop 0                                                    // 00000000354C: BF800000
	v_mul_f32_e32 v16, 0x4f7ffffe, v16                         // 000000003550: 0A2020FF 4F7FFFFE
	v_cvt_u32_f32_e32 v16, v16                                 // 000000003558: 7E200F10
	v_mul_lo_u32 v17, s40, v16                                 // 00000000355C: D2850011 00022028
	v_mul_hi_u32 v17, v16, v17                                 // 000000003564: D2860011 00022310
	v_add_u32_e32 v16, v16, v17                                // 00000000356C: 68202310
	v_mul_hi_u32 v16, s64, v16                                 // 000000003570: D2860010 00022040
	v_mul_lo_u32 v17, v16, s65                                 // 000000003578: D2850011 00008310
	v_sub_u32_e32 v19, s64, v17                                // 000000003580: 6A262240
	v_add_u32_e32 v18, 1, v16                                  // 000000003584: 68242081
	v_cmp_le_u32_e32 vcc, s65, v19                             // 000000003588: 7D962641
	v_subrev_u32_e32 v17, s65, v19                             // 00000000358C: 6C222641
	s_nop 0                                                    // 000000003590: BF800000
	v_cndmask_b32_e32 v16, v16, v18, vcc                       // 000000003594: 00202510
	v_cndmask_b32_e32 v19, v19, v17, vcc                       // 000000003598: 00262313
	v_add_u32_e32 v17, 1, v16                                  // 00000000359C: 68222081
	v_cmp_le_u32_e32 vcc, s65, v19                             // 0000000035A0: 7D962641
	s_nop 1                                                    // 0000000035A4: BF800001
	v_cndmask_b32_e32 v19, v16, v17, vcc                       // 0000000035A8: 00262310
	s_nop 3                                                    // 0000000035AC: BF800003
	v_readfirstlane_b32 s66, v19                               // 0000000035B0: 7E840513
	s_nop 3                                                    // 0000000035B4: BF800003
	s_mov_b32 s49, 0x7060302                                   // 0000000035B8: BEB100FF 07060302
	s_mov_b32 s50, 0x5040100                                   // 0000000035C0: BEB200FF 05040100
	v_mov_b32_e32 v41, 0xffff0000                              // 0000000035C8: 7E5202FF FFFF0000
	v_mov_b32_e32 v42, 0x7fff0000                              // 0000000035D0: 7E5402FF 7FFF0000
	v_mov_b32_e32 v43, 0x7fff                                  // 0000000035D8: 7E5602FF 00007FFF
	v_lshrrev_b32_e32 v16, 5, v0                               // 0000000035E0: 20200085
	v_sub_u32_e32 v16, 1, v16                                  // 0000000035E4: 6A202081
	v_mul_i32_i24_e32 v32, 0x80, v16                           // 0000000035E8: 0C4020FF 00000080
	v_and_b32_e32 v16, 31, v0                                  // 0000000035F0: 2620009F
	v_mul_i32_i24_e32 v16, 4, v16                              // 0000000035F4: 0C202084
	v_add_u32_e32 v32, v16, v32                                // 0000000035F8: 68404110
	s_mov_b32 s60, 0                                           // 0000000035FC: BEBC0080
	s_mov_b32 s35, 0                                           // 000000003600: BEA30080
	s_mul_i32 s43, 32, s61                                     // 000000003604: 922B3DA0
	s_mul_i32 s44, 32, s80                                     // 000000003608: 922C50A0
	s_mul_i32 s40, s4, s33                                     // 00000000360C: 92282104
	s_mul_hi_u32 s42, s4, s33                                  // 000000003610: 962A2104
	s_and_b32 s42, s42, 0xffff                                 // 000000003614: 862AFF2A 0000FFFF
	s_mul_i32 s41, s3, s32                                     // 00000000361C: 92292003
	s_add_u32 s40, s40, s41                                    // 000000003620: 80282928
	s_add_u32 s8, s40, s8                                      // 000000003624: 80080828
	s_addc_u32 s9, s42, s9                                     // 000000003628: 8209092A
	s_mul_i32 s40, s4, s85                                     // 00000000362C: 92285504
	s_mul_hi_u32 s42, s4, s85                                  // 000000003630: 962A5504
	s_and_b32 s42, s42, 0xffff                                 // 000000003634: 862AFF2A 0000FFFF
	s_mul_i32 s41, s3, s84                                     // 00000000363C: 92295403
	s_add_u32 s40, s40, s41                                    // 000000003640: 80282928
	s_add_u32 s20, s40, s20                                    // 000000003644: 80141428
	s_addc_u32 s21, s42, s21                                   // 000000003648: 8215152A
	s_mul_i32 s40, s96, s86                                    // 00000000364C: 92285660
	s_mul_i32 s40, s4, s40                                     // 000000003650: 92282804
	s_mul_i32 s41, s3, s86                                     // 000000003654: 92295603
	s_nop 0                                                    // 000000003658: BF800000
	s_add_i32 s40, s40, s41                                    // 00000000365C: 81282928
	s_add_u32 s24, s40, s24                                    // 000000003660: 80181828
	s_addc_u32 s25, 0, s25                                     // 000000003664: 82191980
	s_mul_i32 s40, s4, s48                                     // 000000003668: 92283004
	s_mul_hi_u32 s42, s4, s48                                  // 00000000366C: 962A3004
	s_and_b32 s42, s42, 0xffff                                 // 000000003670: 862AFF2A 0000FFFF
	s_mul_i32 s41, s66, s47                                    // 000000003678: 92292F42
	s_add_u32 s40, s40, s41                                    // 00000000367C: 80282928
	s_add_u32 s12, s40, s12                                    // 000000003680: 800C0C28
	s_addc_u32 s13, s42, s13                                   // 000000003684: 820D0D2A
	s_mul_i32 s40, s4, s82                                     // 000000003688: 92285204
	s_mul_hi_u32 s42, s4, s82                                  // 00000000368C: 962A5204
	s_and_b32 s42, s42, 0xffff                                 // 000000003690: 862AFF2A 0000FFFF
	s_mul_i32 s41, s66, s81                                    // 000000003698: 92295142
	s_add_u32 s40, s40, s41                                    // 00000000369C: 80282928
	s_add_u32 s16, s40, s16                                    // 0000000036A0: 80101028
	s_addc_u32 s17, s42, s17                                   // 0000000036A4: 8211112A
	s_mov_b32 s52, 0                                           // 0000000036A8: BEB40080
	s_mov_b32 s53, 32                                          // 0000000036AC: BEB500A0
	s_mov_b32 s36, 0                                           // 0000000036B0: BEA40080
	s_mov_b32 s29, 0x3fb8aa3b                                  // 0000000036B4: BE9D00FF 3FB8AA3B
	v_mov_b32_e32 v31, 0xff800000                              // 0000000036BC: 7E3E02FF FF800000
	s_mov_b32 s59, 0                                           // 0000000036C4: BEBB0080
	s_lshr_b32 s54, s7, 5                                      // 0000000036C8: 8F368507
	s_lshl_b32 s54, s54, 5                                     // 0000000036CC: 8E368536
	v_lshrrev_b32_e32 v16, 5, v0                               // 0000000036D0: 20200085
	v_mul_i32_i24_e32 v30, 4, v16                              // 0000000036D4: 0C3C2084

00000000000036d8 <label_00F6>:
	s_add_u32 s38, s2, 1                                       // 0000000036D8: 80268102
	s_lshl_b32 s38, s38, 8                                     // 0000000036DC: 8E268826
	s_lshl_b32 s51, s2, 8                                      // 0000000036E0: 8E338802
	s_sub_i32 s40, s7, s30                                     // 0000000036E4: 81A81E07
	s_add_i32 s51, s51, s40                                    // 0000000036E8: 81332833
	s_ashr_i32 s51, s51, 5                                     // 0000000036EC: 90338533
	s_lshl_b32 s51, s51, 5                                     // 0000000036F0: 8E338533
	s_add_i32 s38, s38, s40                                    // 0000000036F4: 81262826
	s_cmp_lt_i32 s38, s7                                       // 0000000036F8: BF040726
	s_cselect_b32 s38, s38, s7                                 // 0000000036FC: 85260726
	s_cmp_lt_i32 s38, 32                                       // 000000003700: BF04A026
	s_cselect_b32 s38, 32, s38                                 // 000000003704: 852626A0
	s_nop 0                                                    // 000000003708: BF800000
	s_nop 0                                                    // 00000000370C: BF800000
	s_mul_i32 s40, s5, 32                                      // 000000003710: 9228A005
	v_lshrrev_b32_e32 v16, 5, v0                               // 000000003714: 20200085
	v_mul_i32_i24_e32 v16, 4, v16                              // 000000003718: 0C202084
	v_and_b32_e32 v29, 31, v0                                  // 00000000371C: 263A009F
	v_sub_i32 v29, v29, v16                                    // 000000003720: D29D001D 0002211D
	s_nop 0                                                    // 000000003728: BF800000
	v_add_i32 v29, v29, s40                                    // 00000000372C: D29C001D 0000511D
	s_mov_b32 s39, 0                                           // 000000003734: BEA70080
	v_mov_b32_e32 v17, s29                                     // 000000003738: 7E22021D
	v_mov_b32_e32 v16, s28                                     // 00000000373C: 7E20021C
	v_mul_f32_e32 v16, s29, v16                                // 000000003740: 0A20201D
	v_rcp_f32_e32 v17, v17                                     // 000000003744: 7E224511
	v_mov_b32_e32 v22, 0                                       // 000000003748: 7E2C0280
	v_mov_b32_e32 v28, 0xff7fffff                              // 00000000374C: 7E3802FF FF7FFFFF
	v_mov_b32_e32 v20, 0                                       // 000000003754: 7E280280
	v_mov_b32_e32 v22, 0                                       // 000000003758: 7E2C0280
	v_readfirstlane_b32 s56, v16                               // 00000000375C: 7E700510
	v_readfirstlane_b32 s45, v17                               // 000000003760: 7E5A0511
	v_rcp_f32_e32 v16, v16                                     // 000000003764: 7E204510
	s_nop 1                                                    // 000000003768: BF800001
	v_mul_f32_e32 v16, v28, v16                                // 00000000376C: 0A20211C
	v_max_f32_e32 v28, v28, v16                                // 000000003770: 1638211C
	s_mul_i32 s63, s2, s31                                     // 000000003774: 923F1F02
	v_lshlrev_b32_e32 v8, 2, v0                                // 000000003778: 24100082
	s_mul_i32 s40, s5, s62                                     // 00000000377C: 92283E05
	v_add_u32_e32 v8, s40, v8                                  // 000000003780: 68101028
	s_mul_i32 s41, 8, s62                                      // 000000003784: 92293E88
	v_add_u32_e32 v9, s41, v8                                  // 000000003788: 68121029
	v_add_u32_e32 v10, s41, v9                                 // 00000000378C: 68141229
	v_add_u32_e32 v11, s41, v10                                // 000000003790: 68161429
	v_add_u32_e32 v8, s63, v8                                  // 000000003794: 6810103F
	v_add_u32_e32 v9, s63, v9                                  // 000000003798: 6812123F
	v_add_u32_e32 v10, s63, v10                                // 00000000379C: 6814143F
	v_add_u32_e32 v11, s63, v11                                // 0000000037A0: 6816163F
	s_mul_i32 s40, s5, 0x110                                   // 0000000037A4: 9228FF05 00000110
	s_add_u32 s58, 0x4400, s40                                 // 0000000037AC: 803A28FF 00004400
	s_mov_b32 s57, s56                                         // 0000000037B4: BEB90038
	s_mov_b32 s40, 0                                           // 0000000037B8: BEA80080
	s_add_u32 m0, s40, s58                                     // 0000000037BC: 807C3A28
	s_mul_i32 s40, 0, s62                                      // 0000000037C0: 92283E80
	v_add_u32_e32 v4, s40, v8                                  // 0000000037C4: 68081028
	v_add_u32_e32 v5, s40, v9                                  // 0000000037C8: 680A1228
	v_add_u32_e32 v6, s40, v10                                 // 0000000037CC: 680C1428
	v_add_u32_e32 v7, s40, v11                                 // 0000000037D0: 680E1628
	buffer_load_dword v4, s[8:11], s59 offen lds               // 0000000037D4: E0511000 3B020004
	s_add_u32 m0, 0x880, m0                                    // 0000000037DC: 807C7CFF 00000880
	buffer_load_dword v5, s[8:11], s59 offen lds               // 0000000037E4: E0511000 3B020005
	s_add_u32 m0, 0x880, m0                                    // 0000000037EC: 807C7CFF 00000880
	buffer_load_dword v6, s[8:11], s59 offen lds               // 0000000037F4: E0511000 3B020006
	s_add_u32 m0, 0x880, m0                                    // 0000000037FC: 807C7CFF 00000880
	buffer_load_dword v7, s[8:11], s59 offen lds               // 000000003804: E0511000 3B020007
	s_add_u32 m0, 0x880, m0                                    // 00000000380C: 807C7CFF 00000880
	s_mov_b32 s40, 0x2200                                      // 000000003814: BEA800FF 00002200
	s_add_u32 m0, s40, s58                                     // 00000000381C: 807C3A28
	s_mul_i32 s40, 32, s62                                     // 000000003820: 92283EA0
	v_add_u32_e32 v4, s40, v8                                  // 000000003824: 68081028
	v_add_u32_e32 v5, s40, v9                                  // 000000003828: 680A1228
	v_add_u32_e32 v6, s40, v10                                 // 00000000382C: 680C1428
	v_add_u32_e32 v7, s40, v11                                 // 000000003830: 680E1628
	buffer_load_dword v4, s[8:11], s59 offen lds               // 000000003834: E0511000 3B020004
	s_add_u32 m0, 0x880, m0                                    // 00000000383C: 807C7CFF 00000880
	buffer_load_dword v5, s[8:11], s59 offen lds               // 000000003844: E0511000 3B020005
	s_add_u32 m0, 0x880, m0                                    // 00000000384C: 807C7CFF 00000880
	buffer_load_dword v6, s[8:11], s59 offen lds               // 000000003854: E0511000 3B020006
	s_add_u32 m0, 0x880, m0                                    // 00000000385C: 807C7CFF 00000880
	buffer_load_dword v7, s[8:11], s59 offen lds               // 000000003864: E0511000 3B020007
	s_add_u32 m0, 0x880, m0                                    // 00000000386C: 807C7CFF 00000880
	s_mov_b32 s40, 0x4400                                      // 000000003874: BEA800FF 00004400
	s_add_u32 m0, s40, s58                                     // 00000000387C: 807C3A28
	s_mul_i32 s40, 64, s62                                     // 000000003880: 92283EC0
	v_add_u32_e32 v4, s40, v8                                  // 000000003884: 68081028
	v_add_u32_e32 v5, s40, v9                                  // 000000003888: 680A1228
	v_add_u32_e32 v6, s40, v10                                 // 00000000388C: 680C1428
	v_add_u32_e32 v7, s40, v11                                 // 000000003890: 680E1628
	buffer_load_dword v4, s[8:11], s59 offen lds               // 000000003894: E0511000 3B020004
	s_add_u32 m0, 0x880, m0                                    // 00000000389C: 807C7CFF 00000880
	buffer_load_dword v5, s[8:11], s59 offen lds               // 0000000038A4: E0511000 3B020005
	s_add_u32 m0, 0x880, m0                                    // 0000000038AC: 807C7CFF 00000880
	buffer_load_dword v6, s[8:11], s59 offen lds               // 0000000038B4: E0511000 3B020006
	s_add_u32 m0, 0x880, m0                                    // 0000000038BC: 807C7CFF 00000880
	buffer_load_dword v7, s[8:11], s59 offen lds               // 0000000038C4: E0511000 3B020007
	s_add_u32 m0, 0x880, m0                                    // 0000000038CC: 807C7CFF 00000880
	s_mov_b32 s40, 0x6600                                      // 0000000038D4: BEA800FF 00006600
	s_add_u32 m0, s40, s58                                     // 0000000038DC: 807C3A28
	s_mul_i32 s40, 0x60, s62                                   // 0000000038E0: 92283EFF 00000060
	v_add_u32_e32 v4, s40, v8                                  // 0000000038E8: 68081028
	v_add_u32_e32 v5, s40, v9                                  // 0000000038EC: 680A1228
	v_add_u32_e32 v6, s40, v10                                 // 0000000038F0: 680C1428
	v_add_u32_e32 v7, s40, v11                                 // 0000000038F4: 680E1628
	buffer_load_dword v4, s[8:11], s59 offen lds               // 0000000038F8: E0511000 3B020004
	s_add_u32 m0, 0x880, m0                                    // 000000003900: 807C7CFF 00000880
	buffer_load_dword v5, s[8:11], s59 offen lds               // 000000003908: E0511000 3B020005
	s_add_u32 m0, 0x880, m0                                    // 000000003910: 807C7CFF 00000880
	buffer_load_dword v6, s[8:11], s59 offen lds               // 000000003918: E0511000 3B020006
	s_add_u32 m0, 0x880, m0                                    // 000000003920: 807C7CFF 00000880
	buffer_load_dword v7, s[8:11], s59 offen lds               // 000000003928: E0511000 3B020007
	s_add_u32 m0, 0x880, m0                                    // 000000003930: 807C7CFF 00000880
	v_mov_b32_e32 v96, 0                                       // 000000003938: 7EC00280
	v_mov_b32_e32 v97, 0                                       // 00000000393C: 7EC20280
	v_mov_b32_e32 v98, 0                                       // 000000003940: 7EC40280
	v_mov_b32_e32 v99, 0                                       // 000000003944: 7EC60280
	v_mov_b32_e32 v100, 0                                      // 000000003948: 7EC80280
	v_mov_b32_e32 v101, 0                                      // 00000000394C: 7ECA0280
	v_mov_b32_e32 v102, 0                                      // 000000003950: 7ECC0280
	v_mov_b32_e32 v103, 0                                      // 000000003954: 7ECE0280
	v_mov_b32_e32 v104, 0                                      // 000000003958: 7ED00280
	v_mov_b32_e32 v105, 0                                      // 00000000395C: 7ED20280
	v_mov_b32_e32 v106, 0                                      // 000000003960: 7ED40280
	v_mov_b32_e32 v107, 0                                      // 000000003964: 7ED60280
	v_mov_b32_e32 v108, 0                                      // 000000003968: 7ED80280
	v_mov_b32_e32 v109, 0                                      // 00000000396C: 7EDA0280
	v_mov_b32_e32 v110, 0                                      // 000000003970: 7EDC0280
	v_mov_b32_e32 v111, 0                                      // 000000003974: 7EDE0280
	v_mov_b32_e32 v112, 0                                      // 000000003978: 7EE00280
	v_mov_b32_e32 v113, 0                                      // 00000000397C: 7EE20280
	v_mov_b32_e32 v114, 0                                      // 000000003980: 7EE40280
	v_mov_b32_e32 v115, 0                                      // 000000003984: 7EE60280
	v_mov_b32_e32 v116, 0                                      // 000000003988: 7EE80280
	v_mov_b32_e32 v117, 0                                      // 00000000398C: 7EEA0280
	v_mov_b32_e32 v118, 0                                      // 000000003990: 7EEC0280
	v_mov_b32_e32 v119, 0                                      // 000000003994: 7EEE0280
	v_mov_b32_e32 v120, 0                                      // 000000003998: 7EF00280
	v_mov_b32_e32 v121, 0                                      // 00000000399C: 7EF20280
	v_mov_b32_e32 v122, 0                                      // 0000000039A0: 7EF40280
	v_mov_b32_e32 v123, 0                                      // 0000000039A4: 7EF60280
	v_mov_b32_e32 v124, 0                                      // 0000000039A8: 7EF80280
	v_mov_b32_e32 v125, 0                                      // 0000000039AC: 7EFA0280
	v_mov_b32_e32 v126, 0                                      // 0000000039B0: 7EFC0280
	v_mov_b32_e32 v127, 0                                      // 0000000039B4: 7EFE0280
	v_lshrrev_b32_e32 v16, 5, v0                               // 0000000039B8: 20200085
	v_mul_i32_i24_e32 v17, 4, v16                              // 0000000039BC: 0C222084
	v_and_b32_e32 v16, 31, v0                                  // 0000000039C0: 2620009F
	v_mul_i32_i24_e32 v2, 0x44, v16                            // 0000000039C4: 0C0420FF 00000044
	v_add_u32_e32 v2, v2, v17                                  // 0000000039CC: 68042302
	v_lshlrev_b32_e32 v2, 2, v2                                // 0000000039D0: 24040482
	s_and_b32 s40, 3, s5                                       // 0000000039D4: 86280583
	s_mul_i32 s40, s40, 0x2200                                 // 0000000039D8: 9228FF28 00002200
	v_add_u32_e32 v2, s40, v2                                  // 0000000039E0: 68040428
	s_waitcnt vmcnt(0) expcnt(0) lgkmcnt(0)                    // 0000000039E4: BF8C0000
	s_barrier                                                  // 0000000039E8: BF8A0000
	s_cmp_lt_i32 s5, 4                                         // 0000000039EC: BF048405
	s_cbranch_scc0 label_01CD                                  // 0000000039F0: BF840010
	ds_read_b128 v[160:163], v2 offset:17408                   // 0000000039F4: D9FE4400 A0000002
	ds_read_b128 v[164:167], v2 offset:17440                   // 0000000039FC: D9FE4420 A4000002
	ds_read_b128 v[168:171], v2 offset:17472                   // 000000003A04: D9FE4440 A8000002
	ds_read_b128 v[172:175], v2 offset:17504                   // 000000003A0C: D9FE4460 AC000002
	ds_read_b128 v[176:179], v2 offset:17536                   // 000000003A14: D9FE4480 B0000002
	ds_read_b128 v[180:183], v2 offset:17568                   // 000000003A1C: D9FE44A0 B4000002
	ds_read_b128 v[184:187], v2 offset:17600                   // 000000003A24: D9FE44C0 B8000002
	ds_read_b128 v[188:191], v2 offset:17632                   // 000000003A2C: D9FE44E0 BC000002

0000000000003a34 <label_01CD>:
	s_waitcnt vmcnt(0) expcnt(0) lgkmcnt(0)                    // 000000003A34: BF8C0000
	s_barrier                                                  // 000000003A38: BF8A0000
	s_mov_b32 s40, 0                                           // 000000003A3C: BEA80080
	s_add_u32 m0, s40, s58                                     // 000000003A40: 807C3A28
	s_mul_i32 s40, 0x80, s62                                   // 000000003A44: 92283EFF 00000080
	v_add_u32_e32 v4, s40, v8                                  // 000000003A4C: 68081028
	v_add_u32_e32 v5, s40, v9                                  // 000000003A50: 680A1228
	v_add_u32_e32 v6, s40, v10                                 // 000000003A54: 680C1428
	v_add_u32_e32 v7, s40, v11                                 // 000000003A58: 680E1628
	buffer_load_dword v4, s[8:11], s59 offen lds               // 000000003A5C: E0511000 3B020004
	s_add_u32 m0, 0x880, m0                                    // 000000003A64: 807C7CFF 00000880
	buffer_load_dword v5, s[8:11], s59 offen lds               // 000000003A6C: E0511000 3B020005
	s_add_u32 m0, 0x880, m0                                    // 000000003A74: 807C7CFF 00000880
	buffer_load_dword v6, s[8:11], s59 offen lds               // 000000003A7C: E0511000 3B020006
	s_add_u32 m0, 0x880, m0                                    // 000000003A84: 807C7CFF 00000880
	buffer_load_dword v7, s[8:11], s59 offen lds               // 000000003A8C: E0511000 3B020007
	s_add_u32 m0, 0x880, m0                                    // 000000003A94: 807C7CFF 00000880
	s_mov_b32 s40, 0x2200                                      // 000000003A9C: BEA800FF 00002200
	s_add_u32 m0, s40, s58                                     // 000000003AA4: 807C3A28
	s_mul_i32 s40, 0xa0, s62                                   // 000000003AA8: 92283EFF 000000A0
	v_add_u32_e32 v4, s40, v8                                  // 000000003AB0: 68081028
	v_add_u32_e32 v5, s40, v9                                  // 000000003AB4: 680A1228
	v_add_u32_e32 v6, s40, v10                                 // 000000003AB8: 680C1428
	v_add_u32_e32 v7, s40, v11                                 // 000000003ABC: 680E1628
	buffer_load_dword v4, s[8:11], s59 offen lds               // 000000003AC0: E0511000 3B020004
	s_add_u32 m0, 0x880, m0                                    // 000000003AC8: 807C7CFF 00000880
	buffer_load_dword v5, s[8:11], s59 offen lds               // 000000003AD0: E0511000 3B020005
	s_add_u32 m0, 0x880, m0                                    // 000000003AD8: 807C7CFF 00000880
	buffer_load_dword v6, s[8:11], s59 offen lds               // 000000003AE0: E0511000 3B020006
	s_add_u32 m0, 0x880, m0                                    // 000000003AE8: 807C7CFF 00000880
	buffer_load_dword v7, s[8:11], s59 offen lds               // 000000003AF0: E0511000 3B020007
	s_add_u32 m0, 0x880, m0                                    // 000000003AF8: 807C7CFF 00000880
	s_mov_b32 s40, 0x4400                                      // 000000003B00: BEA800FF 00004400
	s_add_u32 m0, s40, s58                                     // 000000003B08: 807C3A28
	s_mul_i32 s40, 0xc0, s62                                   // 000000003B0C: 92283EFF 000000C0
	v_add_u32_e32 v4, s40, v8                                  // 000000003B14: 68081028
	v_add_u32_e32 v5, s40, v9                                  // 000000003B18: 680A1228
	v_add_u32_e32 v6, s40, v10                                 // 000000003B1C: 680C1428
	v_add_u32_e32 v7, s40, v11                                 // 000000003B20: 680E1628
	buffer_load_dword v4, s[8:11], s59 offen lds               // 000000003B24: E0511000 3B020004
	s_add_u32 m0, 0x880, m0                                    // 000000003B2C: 807C7CFF 00000880
	buffer_load_dword v5, s[8:11], s59 offen lds               // 000000003B34: E0511000 3B020005
	s_add_u32 m0, 0x880, m0                                    // 000000003B3C: 807C7CFF 00000880
	buffer_load_dword v6, s[8:11], s59 offen lds               // 000000003B44: E0511000 3B020006
	s_add_u32 m0, 0x880, m0                                    // 000000003B4C: 807C7CFF 00000880
	buffer_load_dword v7, s[8:11], s59 offen lds               // 000000003B54: E0511000 3B020007
	s_add_u32 m0, 0x880, m0                                    // 000000003B5C: 807C7CFF 00000880
	s_mov_b32 s40, 0x6600                                      // 000000003B64: BEA800FF 00006600
	s_add_u32 m0, s40, s58                                     // 000000003B6C: 807C3A28
	s_mul_i32 s40, 0xe0, s62                                   // 000000003B70: 92283EFF 000000E0
	v_add_u32_e32 v4, s40, v8                                  // 000000003B78: 68081028
	v_add_u32_e32 v5, s40, v9                                  // 000000003B7C: 680A1228
	v_add_u32_e32 v6, s40, v10                                 // 000000003B80: 680C1428
	v_add_u32_e32 v7, s40, v11                                 // 000000003B84: 680E1628
	buffer_load_dword v4, s[8:11], s59 offen lds               // 000000003B88: E0511000 3B020004
	s_add_u32 m0, 0x880, m0                                    // 000000003B90: 807C7CFF 00000880
	buffer_load_dword v5, s[8:11], s59 offen lds               // 000000003B98: E0511000 3B020005
	s_add_u32 m0, 0x880, m0                                    // 000000003BA0: 807C7CFF 00000880
	buffer_load_dword v6, s[8:11], s59 offen lds               // 000000003BA8: E0511000 3B020006
	s_add_u32 m0, 0x880, m0                                    // 000000003BB0: 807C7CFF 00000880
	buffer_load_dword v7, s[8:11], s59 offen lds               // 000000003BB8: E0511000 3B020007
	s_add_u32 m0, 0x880, m0                                    // 000000003BC0: 807C7CFF 00000880
	v_mov_b32_e32 v128, 0                                      // 000000003BC8: 7F000280
	v_mov_b32_e32 v129, 0                                      // 000000003BCC: 7F020280
	v_mov_b32_e32 v130, 0                                      // 000000003BD0: 7F040280
	v_mov_b32_e32 v131, 0                                      // 000000003BD4: 7F060280
	v_mov_b32_e32 v132, 0                                      // 000000003BD8: 7F080280
	v_mov_b32_e32 v133, 0                                      // 000000003BDC: 7F0A0280
	v_mov_b32_e32 v134, 0                                      // 000000003BE0: 7F0C0280
	v_mov_b32_e32 v135, 0                                      // 000000003BE4: 7F0E0280
	v_mov_b32_e32 v136, 0                                      // 000000003BE8: 7F100280
	v_mov_b32_e32 v137, 0                                      // 000000003BEC: 7F120280
	v_mov_b32_e32 v138, 0                                      // 000000003BF0: 7F140280
	v_mov_b32_e32 v139, 0                                      // 000000003BF4: 7F160280
	v_mov_b32_e32 v140, 0                                      // 000000003BF8: 7F180280
	v_mov_b32_e32 v141, 0                                      // 000000003BFC: 7F1A0280
	v_mov_b32_e32 v142, 0                                      // 000000003C00: 7F1C0280
	v_mov_b32_e32 v143, 0                                      // 000000003C04: 7F1E0280
	v_mov_b32_e32 v144, 0                                      // 000000003C08: 7F200280
	v_mov_b32_e32 v145, 0                                      // 000000003C0C: 7F220280
	v_mov_b32_e32 v146, 0                                      // 000000003C10: 7F240280
	v_mov_b32_e32 v147, 0                                      // 000000003C14: 7F260280
	v_mov_b32_e32 v148, 0                                      // 000000003C18: 7F280280
	v_mov_b32_e32 v149, 0                                      // 000000003C1C: 7F2A0280
	v_mov_b32_e32 v150, 0                                      // 000000003C20: 7F2C0280
	v_mov_b32_e32 v151, 0                                      // 000000003C24: 7F2E0280
	v_mov_b32_e32 v152, 0                                      // 000000003C28: 7F300280
	v_mov_b32_e32 v153, 0                                      // 000000003C2C: 7F320280
	v_mov_b32_e32 v154, 0                                      // 000000003C30: 7F340280
	v_mov_b32_e32 v155, 0                                      // 000000003C34: 7F360280
	v_mov_b32_e32 v156, 0                                      // 000000003C38: 7F380280
	v_mov_b32_e32 v157, 0                                      // 000000003C3C: 7F3A0280
	v_mov_b32_e32 v158, 0                                      // 000000003C40: 7F3C0280
	v_mov_b32_e32 v159, 0                                      // 000000003C44: 7F3E0280
	s_cmp_le_u32 s7, 0                                         // 000000003C48: BF0B8007
	s_cbranch_scc1 label_0D26                                  // 000000003C4C: BF850AD2
	v_lshrrev_b32_e32 v16, 5, v0                               // 000000003C50: 20200085
	v_mul_i32_i24_e32 v17, 4, v16                              // 000000003C54: 0C222084
	v_and_b32_e32 v16, 31, v0                                  // 000000003C58: 2620009F
	v_mul_i32_i24_e32 v12, 0x44, v16                           // 000000003C5C: 0C1820FF 00000044
	v_add_u32_e32 v12, v12, v17                                // 000000003C64: 6818230C
	v_lshlrev_b32_e32 v12, 2, v12                              // 000000003C68: 24181882
	v_lshrrev_b32_e32 v16, 5, v0                               // 000000003C6C: 20200085
	v_mul_i32_i24_e32 v17, 0x80, v16                           // 000000003C70: 0C2220FF 00000080
	v_and_b32_e32 v16, 30, v0                                  // 000000003C78: 2620009E
	v_add_u32_e32 v13, v17, v16                                // 000000003C7C: 681A2111
	v_and_b32_e32 v16, 1, v0                                   // 000000003C80: 26200081
	v_mul_i32_i24_e32 v16, 0x410, v16                          // 000000003C84: 0C2020FF 00000410
	v_add_u32_e32 v13, v16, v13                                // 000000003C8C: 681A1B10
	v_lshlrev_b32_e32 v13, 2, v13                              // 000000003C90: 241A1A82
	v_lshlrev_b32_e32 v14, 1, v0                               // 000000003C94: 241C0081
	s_mul_i32 s40, s5, 0x80                                    // 000000003C98: 9228FF05 00000080
	v_add_u32_e32 v14, s40, v14                                // 000000003CA0: 681C1C28
	v_lshlrev_b32_e32 v14, 2, v14                              // 000000003CA4: 241C1C82
	v_lshlrev_b32_e32 v4, 2, v0                                // 000000003CA8: 24080082
	s_mul_i32 s40, s5, s61                                     // 000000003CAC: 92283D05
	v_add_u32_e32 v4, s40, v4                                  // 000000003CB0: 68080828
	s_mul_i32 s41, 8, s61                                      // 000000003CB4: 92293D88
	v_add_u32_e32 v5, s41, v4                                  // 000000003CB8: 680A0829
	v_add_u32_e32 v6, s41, v5                                  // 000000003CBC: 680C0A29
	v_add_u32_e32 v7, s41, v6                                  // 000000003CC0: 680E0C29
	s_mul_i32 s40, s5, 0x110                                   // 000000003CC4: 9228FF05 00000110
	s_add_u32 s68, 0, s40                                      // 000000003CCC: 80442880
	s_add_u32 s69, 0x2200, s68                                 // 000000003CD0: 804544FF 00002200
	v_lshlrev_b32_e32 v8, 2, v0                                // 000000003CD8: 24100082
	s_mul_i32 s40, s5, s80                                     // 000000003CDC: 92285005
	s_mul_i32 s40, s40, 4                                      // 000000003CE0: 92288428
	v_add_u32_e32 v8, s40, v8                                  // 000000003CE4: 68101028
	v_add_u32_e32 v9, s80, v8                                  // 000000003CE8: 68121050
	v_add_u32_e32 v10, s80, v9                                 // 000000003CEC: 68141250
	v_add_u32_e32 v11, s80, v10                                // 000000003CF0: 68161450
	s_waitcnt vmcnt(0) expcnt(0) lgkmcnt(0)                    // 000000003CF4: BF8C0000
	s_barrier                                                  // 000000003CF8: BF8A0000
	s_cmp_lt_i32 s5, 4                                         // 000000003CFC: BF048405
	s_cbranch_scc1 label_0291                                  // 000000003D00: BF850010
	ds_read_b128 v[160:163], v2 offset:17408                   // 000000003D04: D9FE4400 A0000002
	ds_read_b128 v[164:167], v2 offset:17440                   // 000000003D0C: D9FE4420 A4000002
	ds_read_b128 v[168:171], v2 offset:17472                   // 000000003D14: D9FE4440 A8000002
	ds_read_b128 v[172:175], v2 offset:17504                   // 000000003D1C: D9FE4460 AC000002
	ds_read_b128 v[176:179], v2 offset:17536                   // 000000003D24: D9FE4480 B0000002
	ds_read_b128 v[180:183], v2 offset:17568                   // 000000003D2C: D9FE44A0 B4000002
	ds_read_b128 v[184:187], v2 offset:17600                   // 000000003D34: D9FE44C0 B8000002
	ds_read_b128 v[188:191], v2 offset:17632                   // 000000003D3C: D9FE44E0 BC000002

0000000000003d44 <label_0291>:
	s_waitcnt vmcnt(0) expcnt(0) lgkmcnt(0)                    // 000000003D44: BF8C0000
	s_barrier                                                  // 000000003D48: BF8A0000
	s_mov_b32 m0, s68                                          // 000000003D4C: BEFC0044
	buffer_load_dword v4, s[12:15], s60 offen lds              // 000000003D50: E0511000 3C030004
	s_add_u32 m0, 0x880, m0                                    // 000000003D58: 807C7CFF 00000880
	buffer_load_dword v5, s[12:15], s60 offen lds              // 000000003D60: E0511000 3C030005
	s_add_u32 m0, 0x880, m0                                    // 000000003D68: 807C7CFF 00000880
	buffer_load_dword v6, s[12:15], s60 offen lds              // 000000003D70: E0511000 3C030006
	s_add_u32 m0, 0x880, m0                                    // 000000003D78: 807C7CFF 00000880
	buffer_load_dword v7, s[12:15], s60 offen lds              // 000000003D80: E0511000 3C030007
	s_add_u32 m0, 0x880, m0                                    // 000000003D88: 807C7CFF 00000880
	s_add_i32 s60, s43, s60                                    // 000000003D90: 813C3C2B
	s_waitcnt vmcnt(0)                                         // 000000003D94: BF8C0F70
	s_barrier                                                  // 000000003D98: BF8A0000
	ds_read_b128 v[192:195], v12                               // 000000003D9C: D9FE0000 C000000C
	ds_read_b128 v[196:199], v12 offset:32                     // 000000003DA4: D9FE0020 C400000C
	ds_read_b128 v[200:203], v12 offset:64                     // 000000003DAC: D9FE0040 C800000C
	ds_read_b128 v[204:207], v12 offset:96                     // 000000003DB4: D9FE0060 CC00000C
	ds_read_b128 v[208:211], v12 offset:128                    // 000000003DBC: D9FE0080 D000000C
	ds_read_b128 v[212:215], v12 offset:160                    // 000000003DC4: D9FE00A0 D400000C
	ds_read_b128 v[216:219], v12 offset:192                    // 000000003DCC: D9FE00C0 D800000C
	ds_read_b128 v[220:223], v12 offset:224                    // 000000003DD4: D9FE00E0 DC00000C
	s_waitcnt lgkmcnt(0)                                       // 000000003DDC: BF8CC07F
	s_barrier                                                  // 000000003DE0: BF8A0000
	s_mov_b32 m0, s69                                          // 000000003DE4: BEFC0045
	v_mfma_f32_32x32x8_bf16 v[64:79], v[192:193], v[160:161], 0// 000000003DE8: D3E00040 020341C0
	buffer_load_dword v4, s[12:15], s60 offen lds              // 000000003DF0: E0511000 3C030004
	s_add_u32 m0, 0x880, m0                                    // 000000003DF8: 807C7CFF 00000880
	v_mfma_f32_32x32x8_bf16 v[64:79], v[194:195], v[162:163], v[64:79]// 000000003E00: D3E00040 050345C2
	v_mfma_f32_32x32x8_bf16 v[64:79], v[196:197], v[164:165], v[64:79]// 000000003E08: D3E00040 050349C4
	buffer_load_dword v5, s[12:15], s60 offen lds              // 000000003E10: E0511000 3C030005
	s_add_u32 m0, 0x880, m0                                    // 000000003E18: 807C7CFF 00000880
	v_mfma_f32_32x32x8_bf16 v[64:79], v[198:199], v[166:167], v[64:79]// 000000003E20: D3E00040 05034DC6
	v_mfma_f32_32x32x8_bf16 v[64:79], v[200:201], v[168:169], v[64:79]// 000000003E28: D3E00040 050351C8
	buffer_load_dword v6, s[12:15], s60 offen lds              // 000000003E30: E0511000 3C030006
	s_add_u32 m0, 0x880, m0                                    // 000000003E38: 807C7CFF 00000880
	v_mfma_f32_32x32x8_bf16 v[64:79], v[202:203], v[170:171], v[64:79]// 000000003E40: D3E00040 050355CA
	v_mfma_f32_32x32x8_bf16 v[64:79], v[204:205], v[172:173], v[64:79]// 000000003E48: D3E00040 050359CC
	buffer_load_dword v7, s[12:15], s60 offen lds              // 000000003E50: E0511000 3C030007
	s_add_u32 m0, 0x880, m0                                    // 000000003E58: 807C7CFF 00000880
	v_mfma_f32_32x32x8_bf16 v[64:79], v[206:207], v[174:175], v[64:79]// 000000003E60: D3E00040 05035DCE
	v_mfma_f32_32x32x8_bf16 v[64:79], v[208:209], v[176:177], v[64:79]// 000000003E68: D3E00040 050361D0
	buffer_load_dword v224, v8, s[16:19], s35 offen            // 000000003E70: E0501000 2304E008
	v_mfma_f32_32x32x8_bf16 v[64:79], v[210:211], v[178:179], v[64:79]// 000000003E78: D3E00040 050365D2
	v_mfma_f32_32x32x8_bf16 v[64:79], v[212:213], v[180:181], v[64:79]// 000000003E80: D3E00040 050369D4
	buffer_load_dword v225, v9, s[16:19], s35 offen            // 000000003E88: E0501000 2304E109
	v_mfma_f32_32x32x8_bf16 v[64:79], v[214:215], v[182:183], v[64:79]// 000000003E90: D3E00040 05036DD6
	v_mfma_f32_32x32x8_bf16 v[64:79], v[216:217], v[184:185], v[64:79]// 000000003E98: D3E00040 050371D8
	buffer_load_dword v226, v10, s[16:19], s35 offen           // 000000003EA0: E0501000 2304E20A
	v_mfma_f32_32x32x8_bf16 v[64:79], v[218:219], v[186:187], v[64:79]// 000000003EA8: D3E00040 050375DA
	v_mfma_f32_32x32x8_bf16 v[64:79], v[220:221], v[188:189], v[64:79]// 000000003EB0: D3E00040 050379DC
	buffer_load_dword v227, v11, s[16:19], s35 offen           // 000000003EB8: E0501000 2304E30B
	v_mfma_f32_32x32x8_bf16 v[64:79], v[222:223], v[190:191], v[64:79]// 000000003EC0: D3E00040 05037DDE
	s_add_i32 s60, s43, s60                                    // 000000003EC8: 813C3C2B
	s_add_i32 s35, s44, s35                                    // 000000003ECC: 8123232C
	s_cmp_lt_i32 s52, s51                                      // 000000003ED0: BF043334
	s_cbranch_scc1 label_0381                                  // 000000003ED4: BF85008B
	s_sub_i32 s40, s51, s52                                    // 000000003ED8: 81A83433
	s_sub_i32 s41, s7, s30                                     // 000000003EDC: 81A91E07
	s_and_b32 s41, s41, 31                                     // 000000003EE0: 86299F29
	s_add_i32 s40, s40, s41                                    // 000000003EE4: 81282928
	v_add_i32 v16, v29, s40                                    // 000000003EE8: D29C0010 0000511D
	v_cmp_lt_i32_e64 s[72:73], v16, 0                          // 000000003EF0: D0C10048 00010110
	v_cmp_lt_i32_e64 s[74:75], v16, 1                          // 000000003EF8: D0C1004A 00010310
	v_cndmask_b32_e64 v64, v64, v31, s[72:73]                  // 000000003F00: D1000040 01223F40
	v_cndmask_b32_e64 v65, v65, v31, s[74:75]                  // 000000003F08: D1000041 012A3F41
	v_cmp_lt_i32_e64 s[72:73], v16, 2                          // 000000003F10: D0C10048 00010510
	v_cmp_lt_i32_e64 s[74:75], v16, 3                          // 000000003F18: D0C1004A 00010710
	v_cndmask_b32_e64 v66, v66, v31, s[72:73]                  // 000000003F20: D1000042 01223F42
	v_cndmask_b32_e64 v67, v67, v31, s[74:75]                  // 000000003F28: D1000043 012A3F43
	v_cmp_lt_i32_e64 s[72:73], v16, 8                          // 000000003F30: D0C10048 00011110
	v_cmp_lt_i32_e64 s[74:75], v16, 9                          // 000000003F38: D0C1004A 00011310
	v_cndmask_b32_e64 v68, v68, v31, s[72:73]                  // 000000003F40: D1000044 01223F44
	v_cndmask_b32_e64 v69, v69, v31, s[74:75]                  // 000000003F48: D1000045 012A3F45
	v_cmp_lt_i32_e64 s[72:73], v16, 10                         // 000000003F50: D0C10048 00011510
	v_cmp_lt_i32_e64 s[74:75], v16, 11                         // 000000003F58: D0C1004A 00011710
	v_cndmask_b32_e64 v70, v70, v31, s[72:73]                  // 000000003F60: D1000046 01223F46
	v_cndmask_b32_e64 v71, v71, v31, s[74:75]                  // 000000003F68: D1000047 012A3F47
	v_cmp_lt_i32_e64 s[72:73], v16, 16                         // 000000003F70: D0C10048 00012110
	v_cmp_lt_i32_e64 s[74:75], v16, 17                         // 000000003F78: D0C1004A 00012310
	v_cndmask_b32_e64 v72, v72, v31, s[72:73]                  // 000000003F80: D1000048 01223F48
	v_cndmask_b32_e64 v73, v73, v31, s[74:75]                  // 000000003F88: D1000049 012A3F49
	v_cmp_lt_i32_e64 s[72:73], v16, 18                         // 000000003F90: D0C10048 00012510
	v_cmp_lt_i32_e64 s[74:75], v16, 19                         // 000000003F98: D0C1004A 00012710
	v_cndmask_b32_e64 v74, v74, v31, s[72:73]                  // 000000003FA0: D100004A 01223F4A
	v_cndmask_b32_e64 v75, v75, v31, s[74:75]                  // 000000003FA8: D100004B 012A3F4B
	v_cmp_lt_i32_e64 s[72:73], v16, 24                         // 000000003FB0: D0C10048 00013110
	v_cmp_lt_i32_e64 s[74:75], v16, 25                         // 000000003FB8: D0C1004A 00013310
	v_cndmask_b32_e64 v76, v76, v31, s[72:73]                  // 000000003FC0: D100004C 01223F4C
	v_cndmask_b32_e64 v77, v77, v31, s[74:75]                  // 000000003FC8: D100004D 012A3F4D
	v_cmp_lt_i32_e64 s[72:73], v16, 26                         // 000000003FD0: D0C10048 00013510
	v_cmp_lt_i32_e64 s[74:75], v16, 27                         // 000000003FD8: D0C1004A 00013710
	v_cndmask_b32_e64 v78, v78, v31, s[72:73]                  // 000000003FE0: D100004E 01223F4E
	v_cndmask_b32_e64 v79, v79, v31, s[74:75]                  // 000000003FE8: D100004F 012A3F4F
	s_cmp_lt_i32 s52, s54                                      // 000000003FF0: BF043634
	s_cbranch_scc1 label_0381                                  // 000000003FF4: BF850043
	s_sub_i32 s40, s7, s52                                     // 000000003FF8: 81A83407
	v_sub_i32 v16, s40, v30                                    // 000000003FFC: D29D0010 00023C28
	v_cmp_lt_i32_e64 s[72:73], 0, v16                          // 000000004004: D0C10048 00022080
	v_cmp_lt_i32_e64 s[74:75], 1, v16                          // 00000000400C: D0C1004A 00022081
	v_cndmask_b32_e64 v64, v31, v64, s[72:73]                  // 000000004014: D1000040 0122811F
	v_cndmask_b32_e64 v65, v31, v65, s[74:75]                  // 00000000401C: D1000041 012A831F
	v_cmp_lt_i32_e64 s[72:73], 2, v16                          // 000000004024: D0C10048 00022082
	v_cmp_lt_i32_e64 s[74:75], 3, v16                          // 00000000402C: D0C1004A 00022083
	v_cndmask_b32_e64 v66, v31, v66, s[72:73]                  // 000000004034: D1000042 0122851F
	v_cndmask_b32_e64 v67, v31, v67, s[74:75]                  // 00000000403C: D1000043 012A871F
	v_cmp_lt_i32_e64 s[72:73], 8, v16                          // 000000004044: D0C10048 00022088
	v_cmp_lt_i32_e64 s[74:75], 9, v16                          // 00000000404C: D0C1004A 00022089
	v_cndmask_b32_e64 v68, v31, v68, s[72:73]                  // 000000004054: D1000044 0122891F
	v_cndmask_b32_e64 v69, v31, v69, s[74:75]                  // 00000000405C: D1000045 012A8B1F
	v_cmp_lt_i32_e64 s[72:73], 10, v16                         // 000000004064: D0C10048 0002208A
	v_cmp_lt_i32_e64 s[74:75], 11, v16                         // 00000000406C: D0C1004A 0002208B
	v_cndmask_b32_e64 v70, v31, v70, s[72:73]                  // 000000004074: D1000046 01228D1F
	v_cndmask_b32_e64 v71, v31, v71, s[74:75]                  // 00000000407C: D1000047 012A8F1F
	v_cmp_lt_i32_e64 s[72:73], 16, v16                         // 000000004084: D0C10048 00022090
	v_cmp_lt_i32_e64 s[74:75], 17, v16                         // 00000000408C: D0C1004A 00022091
	v_cndmask_b32_e64 v72, v31, v72, s[72:73]                  // 000000004094: D1000048 0122911F
	v_cndmask_b32_e64 v73, v31, v73, s[74:75]                  // 00000000409C: D1000049 012A931F
	v_cmp_lt_i32_e64 s[72:73], 18, v16                         // 0000000040A4: D0C10048 00022092
	v_cmp_lt_i32_e64 s[74:75], 19, v16                         // 0000000040AC: D0C1004A 00022093
	v_cndmask_b32_e64 v74, v31, v74, s[72:73]                  // 0000000040B4: D100004A 0122951F
	v_cndmask_b32_e64 v75, v31, v75, s[74:75]                  // 0000000040BC: D100004B 012A971F
	v_cmp_lt_i32_e64 s[72:73], 24, v16                         // 0000000040C4: D0C10048 00022098
	v_cmp_lt_i32_e64 s[74:75], 25, v16                         // 0000000040CC: D0C1004A 00022099
	v_cndmask_b32_e64 v76, v31, v76, s[72:73]                  // 0000000040D4: D100004C 0122991F
	v_cndmask_b32_e64 v77, v31, v77, s[74:75]                  // 0000000040DC: D100004D 012A9B1F
	v_cmp_lt_i32_e64 s[72:73], 26, v16                         // 0000000040E4: D0C10048 0002209A
	v_cmp_lt_i32_e64 s[74:75], 27, v16                         // 0000000040EC: D0C1004A 0002209B
	v_cndmask_b32_e64 v78, v31, v78, s[72:73]                  // 0000000040F4: D100004E 01229D1F
	v_cndmask_b32_e64 v79, v31, v79, s[74:75]                  // 0000000040FC: D100004F 012A9F1F

0000000000004104 <label_0381>:
	v_max3_f32 v25, v64, v65, v28                              // 000000004104: D1D30019 04728340
	v_max3_f32 v25, v66, v67, v25                              // 00000000410C: D1D30019 04668742
	v_max3_f32 v25, v68, v69, v25                              // 000000004114: D1D30019 04668B44
	v_max3_f32 v25, v70, v71, v25                              // 00000000411C: D1D30019 04668F46
	v_max3_f32 v25, v72, v73, v25                              // 000000004124: D1D30019 04669348
	v_max3_f32 v25, v74, v75, v25                              // 00000000412C: D1D30019 0466974A
	v_max3_f32 v25, v76, v77, v25                              // 000000004134: D1D30019 04669B4C
	v_max3_f32 v25, v78, v79, v25                              // 00000000413C: D1D30019 04669F4E
	ds_permute_b32 v24, v32, v25                               // 000000004144: D87C0000 18001920
	v_nop                                                      // 00000000414C: 7E000000
	s_nop 0                                                    // 000000004150: BF800000
	v_nop                                                      // 000000004154: 7E000000
	s_waitcnt lgkmcnt(0)                                       // 000000004158: BF8CC07F
	v_max_f32_e32 v25, v24, v25                                // 00000000415C: 16323318
	v_mov_b32_e32 v20, 0                                       // 000000004160: 7E280280
	v_mov_b32_e32 v28, v25                                     // 000000004164: 7E380319
	v_mul_f32_e32 v27, s56, v25                                // 000000004168: 0A363238
	v_mul_f32_e32 v20, s56, v20                                // 00000000416C: 0A282838
	v_exp_f32_e32 v20, v20                                     // 000000004170: 7E284114
	v_fma_f32 v64, v64, s56, -v27                              // 000000004174: D1CB0040 846C7140
	v_fma_f32 v65, v65, s56, -v27                              // 00000000417C: D1CB0041 846C7141
	v_fma_f32 v66, v66, s56, -v27                              // 000000004184: D1CB0042 846C7142
	v_fma_f32 v67, v67, s56, -v27                              // 00000000418C: D1CB0043 846C7143
	v_fma_f32 v68, v68, s56, -v27                              // 000000004194: D1CB0044 846C7144
	v_fma_f32 v69, v69, s56, -v27                              // 00000000419C: D1CB0045 846C7145
	v_fma_f32 v70, v70, s56, -v27                              // 0000000041A4: D1CB0046 846C7146
	v_fma_f32 v71, v71, s56, -v27                              // 0000000041AC: D1CB0047 846C7147
	v_fma_f32 v72, v72, s56, -v27                              // 0000000041B4: D1CB0048 846C7148
	v_fma_f32 v73, v73, s56, -v27                              // 0000000041BC: D1CB0049 846C7149
	v_fma_f32 v74, v74, s56, -v27                              // 0000000041C4: D1CB004A 846C714A
	v_fma_f32 v75, v75, s56, -v27                              // 0000000041CC: D1CB004B 846C714B
	v_fma_f32 v76, v76, s56, -v27                              // 0000000041D4: D1CB004C 846C714C
	v_fma_f32 v77, v77, s56, -v27                              // 0000000041DC: D1CB004D 846C714D
	v_fma_f32 v78, v78, s56, -v27                              // 0000000041E4: D1CB004E 846C714E
	v_fma_f32 v79, v79, s56, -v27                              // 0000000041EC: D1CB004F 846C714F
	v_exp_f32_e32 v64, v64                                     // 0000000041F4: 7E804140
	v_exp_f32_e32 v65, v65                                     // 0000000041F8: 7E824141
	v_exp_f32_e32 v66, v66                                     // 0000000041FC: 7E844142
	v_exp_f32_e32 v67, v67                                     // 000000004200: 7E864143
	v_exp_f32_e32 v68, v68                                     // 000000004204: 7E884144
	v_exp_f32_e32 v69, v69                                     // 000000004208: 7E8A4145
	v_exp_f32_e32 v70, v70                                     // 00000000420C: 7E8C4146
	v_exp_f32_e32 v71, v71                                     // 000000004210: 7E8E4147
	v_exp_f32_e32 v72, v72                                     // 000000004214: 7E904148
	v_exp_f32_e32 v73, v73                                     // 000000004218: 7E924149
	v_exp_f32_e32 v74, v74                                     // 00000000421C: 7E94414A
	v_exp_f32_e32 v75, v75                                     // 000000004220: 7E96414B
	v_exp_f32_e32 v76, v76                                     // 000000004224: 7E98414C
	v_exp_f32_e32 v77, v77                                     // 000000004228: 7E9A414D
	v_exp_f32_e32 v78, v78                                     // 00000000422C: 7E9C414E
	s_addk_i32 s39, 0x20                                       // 000000004230: B7270020
	s_add_i32 s52, s52, s53                                    // 000000004234: 81343534
	s_mov_b32 m0, s68                                          // 000000004238: BEFC0044
	buffer_load_dword v4, s[12:15], s60 offen lds              // 00000000423C: E0511000 3C030004
	s_add_u32 m0, 0x880, m0                                    // 000000004244: 807C7CFF 00000880
	buffer_load_dword v5, s[12:15], s60 offen lds              // 00000000424C: E0511000 3C030005
	s_add_u32 m0, 0x880, m0                                    // 000000004254: 807C7CFF 00000880
	buffer_load_dword v6, s[12:15], s60 offen lds              // 00000000425C: E0511000 3C030006
	s_add_u32 m0, 0x880, m0                                    // 000000004264: 807C7CFF 00000880
	buffer_load_dword v7, s[12:15], s60 offen lds              // 00000000426C: E0511000 3C030007
	s_add_u32 m0, 0x880, m0                                    // 000000004274: 807C7CFF 00000880
	s_add_i32 s60, s43, s60                                    // 00000000427C: 813C3C2B
	s_waitcnt vmcnt(8)                                         // 000000004280: BF8C0F78
	s_barrier                                                  // 000000004284: BF8A0000
	s_cmp_lt_i32 s39, s38                                      // 000000004288: BF042627
	s_cbranch_scc0 label_0BBA                                  // 00000000428C: BF8407D6
	s_cmp_lt_i32 s5, 4                                         // 000000004290: BF048405
	s_cbranch_scc0 label_07E1                                  // 000000004294: BF8403FB
	buffer_load_dword v228, v8, s[16:19], s35 offen            // 000000004298: E0501000 2304E408
	buffer_load_dword v229, v9, s[16:19], s35 offen            // 0000000042A0: E0501000 2304E509
	buffer_load_dword v230, v10, s[16:19], s35 offen           // 0000000042A8: E0501000 2304E60A
	buffer_load_dword v231, v11, s[16:19], s35 offen           // 0000000042B0: E0501000 2304E70B
	s_add_i32 s35, s44, s35                                    // 0000000042B8: 8123232C
	ds_read_b128 v[192:195], v12 offset:8704                   // 0000000042BC: D9FE2200 C000000C
	ds_read_b128 v[196:199], v12 offset:8736                   // 0000000042C4: D9FE2220 C400000C
	ds_read_b128 v[200:203], v12 offset:8768                   // 0000000042CC: D9FE2240 C800000C
	ds_read_b128 v[204:207], v12 offset:8800                   // 0000000042D4: D9FE2260 CC00000C
	ds_read_b128 v[208:211], v12 offset:8832                   // 0000000042DC: D9FE2280 D000000C
	ds_read_b128 v[212:215], v12 offset:8864                   // 0000000042E4: D9FE22A0 D400000C
	ds_read_b128 v[216:219], v12 offset:8896                   // 0000000042EC: D9FE22C0 D800000C
	ds_read_b128 v[220:223], v12 offset:8928                   // 0000000042F4: D9FE22E0 DC00000C
	s_setprio 0                                                // 0000000042FC: BF8F0000
	s_barrier                                                  // 000000004300: BF8A0000

0000000000004304 <label_0401>:
	s_waitcnt lgkmcnt(0)                                       // 000000004304: BF8CC07F
	v_mfma_f32_32x32x8_bf16 v[80:95], v[192:193], v[160:161], 0// 000000004308: D3E00050 020341C0
	v_exp_f32_e32 v79, v79                                     // 000000004310: 7E9E414F
	v_mul_f32_e32 v22, v20, v22                                // 000000004314: 0A2C2D14
	v_add_f32_e32 v38, v65, v64                                // 000000004318: 024C8141
	v_add_f32_e32 v38, v66, v38                                // 00000000431C: 024C4D42
	v_mfma_f32_32x32x8_bf16 v[80:95], v[194:195], v[162:163], v[80:95]// 000000004320: D3E00050 054345C2
	v_add_f32_e32 v38, v67, v38                                // 000000004328: 024C4D43
	v_add_f32_e32 v38, v68, v38                                // 00000000432C: 024C4D44
	v_add_f32_e32 v38, v69, v38                                // 000000004330: 024C4D45
	v_add_f32_e32 v38, v70, v38                                // 000000004334: 024C4D46
	v_add_f32_e32 v38, v71, v38                                // 000000004338: 024C4D47
	v_add_f32_e32 v38, v72, v38                                // 00000000433C: 024C4D48
	v_add_f32_e32 v38, v73, v38                                // 000000004340: 024C4D49
	v_mfma_f32_32x32x8_bf16 v[80:95], v[196:197], v[164:165], v[80:95]// 000000004344: D3E00050 054349C4
	v_add_f32_e32 v38, v74, v38                                // 00000000434C: 024C4D4A
	v_add_f32_e32 v38, v75, v38                                // 000000004350: 024C4D4B
	v_add_f32_e32 v38, v76, v38                                // 000000004354: 024C4D4C
	v_add_f32_e32 v38, v77, v38                                // 000000004358: 024C4D4D
	v_add_f32_e32 v38, v78, v38                                // 00000000435C: 024C4D4E
	v_add_f32_e32 v38, v79, v38                                // 000000004360: 024C4D4F
	v_add_f32_e32 v22, v38, v22                                // 000000004364: 022C2D26
	v_mfma_f32_32x32x8_bf16 v[80:95], v[198:199], v[166:167], v[80:95]// 000000004368: D3E00050 05434DC6
	v_mul_f32_e32 v96, v20, v96                                // 000000004370: 0AC0C114
	v_mul_f32_e32 v97, v20, v97                                // 000000004374: 0AC2C314
	v_mul_f32_e32 v98, v20, v98                                // 000000004378: 0AC4C514
	v_mul_f32_e32 v99, v20, v99                                // 00000000437C: 0AC6C714
	v_mul_f32_e32 v100, v20, v100                              // 000000004380: 0AC8C914
	v_mul_f32_e32 v101, v20, v101                              // 000000004384: 0ACACB14
	v_mul_f32_e32 v102, v20, v102                              // 000000004388: 0ACCCD14
	v_mfma_f32_32x32x8_bf16 v[80:95], v[200:201], v[168:169], v[80:95]// 00000000438C: D3E00050 054351C8
	v_mul_f32_e32 v103, v20, v103                              // 000000004394: 0ACECF14
	v_mul_f32_e32 v104, v20, v104                              // 000000004398: 0AD0D114
	v_mul_f32_e32 v105, v20, v105                              // 00000000439C: 0AD2D314
	v_mul_f32_e32 v106, v20, v106                              // 0000000043A0: 0AD4D514
	v_mul_f32_e32 v107, v20, v107                              // 0000000043A4: 0AD6D714
	v_mul_f32_e32 v108, v20, v108                              // 0000000043A8: 0AD8D914
	v_mul_f32_e32 v109, v20, v109                              // 0000000043AC: 0ADADB14
	v_mfma_f32_32x32x8_bf16 v[80:95], v[202:203], v[170:171], v[80:95]// 0000000043B0: D3E00050 054355CA
	v_mul_f32_e32 v110, v20, v110                              // 0000000043B8: 0ADCDD14
	v_mul_f32_e32 v111, v20, v111                              // 0000000043BC: 0ADEDF14
	v_mul_f32_e32 v112, v20, v112                              // 0000000043C0: 0AE0E114
	v_mul_f32_e32 v113, v20, v113                              // 0000000043C4: 0AE2E314
	v_mul_f32_e32 v114, v20, v114                              // 0000000043C8: 0AE4E514
	v_mul_f32_e32 v115, v20, v115                              // 0000000043CC: 0AE6E714
	v_mul_f32_e32 v116, v20, v116                              // 0000000043D0: 0AE8E914
	v_mfma_f32_32x32x8_bf16 v[80:95], v[204:205], v[172:173], v[80:95]// 0000000043D4: D3E00050 054359CC
	v_mul_f32_e32 v117, v20, v117                              // 0000000043DC: 0AEAEB14
	v_mul_f32_e32 v118, v20, v118                              // 0000000043E0: 0AECED14
	v_mul_f32_e32 v119, v20, v119                              // 0000000043E4: 0AEEEF14
	v_mul_f32_e32 v120, v20, v120                              // 0000000043E8: 0AF0F114
	v_mul_f32_e32 v121, v20, v121                              // 0000000043EC: 0AF2F314
	v_mul_f32_e32 v122, v20, v122                              // 0000000043F0: 0AF4F514
	v_mul_f32_e32 v123, v20, v123                              // 0000000043F4: 0AF6F714
	v_mfma_f32_32x32x8_bf16 v[80:95], v[206:207], v[174:175], v[80:95]// 0000000043F8: D3E00050 05435DCE
	v_mul_f32_e32 v124, v20, v124                              // 000000004400: 0AF8F914
	v_mul_f32_e32 v125, v20, v125                              // 000000004404: 0AFAFB14
	v_mul_f32_e32 v126, v20, v126                              // 000000004408: 0AFCFD14
	v_mul_f32_e32 v127, v20, v127                              // 00000000440C: 0AFEFF14
	v_mul_f32_e32 v128, v20, v128                              // 000000004410: 0B010114
	v_mul_f32_e32 v129, v20, v129                              // 000000004414: 0B030314
	v_mul_f32_e32 v130, v20, v130                              // 000000004418: 0B050514
	v_mfma_f32_32x32x8_bf16 v[80:95], v[208:209], v[176:177], v[80:95]// 00000000441C: D3E00050 054361D0
	v_mul_f32_e32 v131, v20, v131                              // 000000004424: 0B070714
	v_mul_f32_e32 v132, v20, v132                              // 000000004428: 0B090914
	v_mul_f32_e32 v133, v20, v133                              // 00000000442C: 0B0B0B14
	v_mul_f32_e32 v134, v20, v134                              // 000000004430: 0B0D0D14
	v_mul_f32_e32 v135, v20, v135                              // 000000004434: 0B0F0F14
	v_mul_f32_e32 v136, v20, v136                              // 000000004438: 0B111114
	v_mul_f32_e32 v137, v20, v137                              // 00000000443C: 0B131314
	v_mfma_f32_32x32x8_bf16 v[80:95], v[210:211], v[178:179], v[80:95]// 000000004440: D3E00050 054365D2
	v_mul_f32_e32 v138, v20, v138                              // 000000004448: 0B151514
	v_mul_f32_e32 v139, v20, v139                              // 00000000444C: 0B171714
	v_mul_f32_e32 v140, v20, v140                              // 000000004450: 0B191914
	v_mul_f32_e32 v141, v20, v141                              // 000000004454: 0B1B1B14
	v_mul_f32_e32 v142, v20, v142                              // 000000004458: 0B1D1D14
	v_mul_f32_e32 v143, v20, v143                              // 00000000445C: 0B1F1F14
	v_mul_f32_e32 v144, v20, v144                              // 000000004460: 0B212114
	v_mfma_f32_32x32x8_bf16 v[80:95], v[212:213], v[180:181], v[80:95]// 000000004464: D3E00050 054369D4
	v_mul_f32_e32 v145, v20, v145                              // 00000000446C: 0B232314
	v_mul_f32_e32 v146, v20, v146                              // 000000004470: 0B252514
	v_mul_f32_e32 v147, v20, v147                              // 000000004474: 0B272714
	v_mul_f32_e32 v148, v20, v148                              // 000000004478: 0B292914
	v_mul_f32_e32 v149, v20, v149                              // 00000000447C: 0B2B2B14
	v_mul_f32_e32 v150, v20, v150                              // 000000004480: 0B2D2D14
	v_mul_f32_e32 v151, v20, v151                              // 000000004484: 0B2F2F14
	v_mfma_f32_32x32x8_bf16 v[80:95], v[214:215], v[182:183], v[80:95]// 000000004488: D3E00050 05436DD6
	s_waitcnt vmcnt(8)                                         // 000000004490: BF8C0F78
	s_barrier                                                  // 000000004494: BF8A0000
	v_mfma_f32_32x32x8_bf16 v[80:95], v[216:217], v[184:185], v[80:95]// 000000004498: D3E00050 054371D8
	v_mul_f32_e32 v152, v20, v152                              // 0000000044A0: 0B313114
	v_mul_f32_e32 v153, v20, v153                              // 0000000044A4: 0B333314
	v_mul_f32_e32 v154, v20, v154                              // 0000000044A8: 0B353514
	v_mul_f32_e32 v155, v20, v155                              // 0000000044AC: 0B373714
	v_mul_f32_e32 v156, v20, v156                              // 0000000044B0: 0B393914
	v_mul_f32_e32 v157, v20, v157                              // 0000000044B4: 0B3B3B14
	v_mul_f32_e32 v158, v20, v158                              // 0000000044B8: 0B3D3D14
	v_mfma_f32_32x32x8_bf16 v[80:95], v[218:219], v[186:187], v[80:95]// 0000000044BC: D3E00050 054375DA
	v_mul_f32_e32 v159, v20, v159                              // 0000000044C4: 0B3F3F14
	v_perm_b32 v64, v65, v64, s49                              // 0000000044C8: D1ED0040 00C68141
	v_perm_b32 v65, v67, v66, s49                              // 0000000044D0: D1ED0041 00C68543
	v_perm_b32 v66, v69, v68, s49                              // 0000000044D8: D1ED0042 00C68945
	v_mfma_f32_32x32x8_bf16 v[80:95], v[220:221], v[188:189], v[80:95]// 0000000044E0: D3E00050 054379DC
	v_perm_b32 v67, v71, v70, s49                              // 0000000044E8: D1ED0043 00C68D47
	v_perm_b32 v68, v73, v72, s49                              // 0000000044F0: D1ED0044 00C69149
	v_perm_b32 v69, v75, v74, s49                              // 0000000044F8: D1ED0045 00C6954B
	v_perm_b32 v70, v77, v76, s49                              // 000000004500: D1ED0046 00C6994D
	v_perm_b32 v71, v79, v78, s49                              // 000000004508: D1ED0047 00C69D4F
	v_mfma_f32_32x32x8_bf16 v[80:95], v[222:223], v[190:191], v[80:95]// 000000004510: D3E00050 05437DDE
	v_perm_b32 v232, v225, v224, s50                           // 000000004518: D1ED00E8 00CBC1E1
	v_perm_b32 v234, v225, v224, s49                           // 000000004520: D1ED00EA 00C7C1E1
	v_perm_b32 v233, v227, v226, s50                           // 000000004528: D1ED00E9 00CBC5E3
	v_perm_b32 v235, v227, v226, s49                           // 000000004530: D1ED00EB 00C7C5E3
	s_barrier                                                  // 000000004538: BF8A0000
	ds_write_b64 v14, v[232:233] offset:17408                  // 00000000453C: D89A4400 0000E80E
	ds_write_b64 v14, v[234:235] offset:21568                  // 000000004544: D89A5440 0000EA0E
	s_waitcnt lgkmcnt(0)                                       // 00000000454C: BF8CC07F
	s_barrier                                                  // 000000004550: BF8A0000
	s_mov_b32 m0, s69                                          // 000000004554: BEFC0045
	ds_read_b64 v[192:193], v13 offset:17408                   // 000000004558: D8EC4400 C000000D
	ds_read_b64 v[194:195], v13 offset:18432                   // 000000004560: D8EC4800 C200000D
	ds_read_b64 v[196:197], v13 offset:19456                   // 000000004568: D8EC4C00 C400000D
	ds_read_b64 v[198:199], v13 offset:20480                   // 000000004570: D8EC5000 C600000D
	buffer_load_dword v4, s[12:15], s60 offen lds              // 000000004578: E0511000 3C030004
	s_add_u32 m0, 0x880, m0                                    // 000000004580: 807C7CFF 00000880
	ds_read_b64 v[200:201], v13 offset:17536                   // 000000004588: D8EC4480 C800000D
	ds_read_b64 v[202:203], v13 offset:18560                   // 000000004590: D8EC4880 CA00000D
	ds_read_b64 v[204:205], v13 offset:19584                   // 000000004598: D8EC4C80 CC00000D
	ds_read_b64 v[206:207], v13 offset:20608                   // 0000000045A0: D8EC5080 CE00000D
	buffer_load_dword v5, s[12:15], s60 offen lds              // 0000000045A8: E0511000 3C030005
	s_add_u32 m0, 0x880, m0                                    // 0000000045B0: 807C7CFF 00000880
	ds_read_b64 v[208:209], v13 offset:17664                   // 0000000045B8: D8EC4500 D000000D
	ds_read_b64 v[210:211], v13 offset:18688                   // 0000000045C0: D8EC4900 D200000D
	ds_read_b64 v[212:213], v13 offset:19712                   // 0000000045C8: D8EC4D00 D400000D
	ds_read_b64 v[214:215], v13 offset:20736                   // 0000000045D0: D8EC5100 D600000D
	buffer_load_dword v6, s[12:15], s60 offen lds              // 0000000045D8: E0511000 3C030006
	s_add_u32 m0, 0x880, m0                                    // 0000000045E0: 807C7CFF 00000880
	ds_read_b64 v[216:217], v13 offset:17792                   // 0000000045E8: D8EC4580 D800000D
	ds_read_b64 v[218:219], v13 offset:18816                   // 0000000045F0: D8EC4980 DA00000D
	ds_read_b64 v[220:221], v13 offset:19840                   // 0000000045F8: D8EC4D80 DC00000D
	ds_read_b64 v[222:223], v13 offset:20864                   // 000000004600: D8EC5180 DE00000D
	buffer_load_dword v7, s[12:15], s60 offen lds              // 000000004608: E0511000 3C030007
	s_add_u32 m0, 0x880, m0                                    // 000000004610: 807C7CFF 00000880
	s_add_i32 s60, s43, s60                                    // 000000004618: 813C3C2B
	s_add_u32 s40, 0x80, s39                                   // 00000000461C: 802827FF 00000080
	s_cmp_lt_u32 s40, s38                                      // 000000004624: BF0A2628
	s_cselect_b32 s43, s43, 0                                  // 000000004628: 852B802B
	s_nop 0                                                    // 00000000462C: BF800000
	s_cmp_lt_i32 s52, s51                                      // 000000004630: BF043334
	s_cbranch_scc1 label_0559                                  // 000000004634: BF85008B
	s_sub_i32 s40, s51, s52                                    // 000000004638: 81A83433
	s_sub_i32 s41, s7, s30                                     // 00000000463C: 81A91E07
	s_and_b32 s41, s41, 31                                     // 000000004640: 86299F29
	s_add_i32 s40, s40, s41                                    // 000000004644: 81282928
	v_add_i32 v16, v29, s40                                    // 000000004648: D29C0010 0000511D
	v_cmp_lt_i32_e64 s[72:73], v16, 0                          // 000000004650: D0C10048 00010110
	v_cmp_lt_i32_e64 s[74:75], v16, 1                          // 000000004658: D0C1004A 00010310
	v_cndmask_b32_e64 v80, v80, v31, s[72:73]                  // 000000004660: D1000050 01223F50
	v_cndmask_b32_e64 v81, v81, v31, s[74:75]                  // 000000004668: D1000051 012A3F51
	v_cmp_lt_i32_e64 s[72:73], v16, 2                          // 000000004670: D0C10048 00010510
	v_cmp_lt_i32_e64 s[74:75], v16, 3                          // 000000004678: D0C1004A 00010710
	v_cndmask_b32_e64 v82, v82, v31, s[72:73]                  // 000000004680: D1000052 01223F52
	v_cndmask_b32_e64 v83, v83, v31, s[74:75]                  // 000000004688: D1000053 012A3F53
	v_cmp_lt_i32_e64 s[72:73], v16, 8                          // 000000004690: D0C10048 00011110
	v_cmp_lt_i32_e64 s[74:75], v16, 9                          // 000000004698: D0C1004A 00011310
	v_cndmask_b32_e64 v84, v84, v31, s[72:73]                  // 0000000046A0: D1000054 01223F54
	v_cndmask_b32_e64 v85, v85, v31, s[74:75]                  // 0000000046A8: D1000055 012A3F55
	v_cmp_lt_i32_e64 s[72:73], v16, 10                         // 0000000046B0: D0C10048 00011510
	v_cmp_lt_i32_e64 s[74:75], v16, 11                         // 0000000046B8: D0C1004A 00011710
	v_cndmask_b32_e64 v86, v86, v31, s[72:73]                  // 0000000046C0: D1000056 01223F56
	v_cndmask_b32_e64 v87, v87, v31, s[74:75]                  // 0000000046C8: D1000057 012A3F57
	v_cmp_lt_i32_e64 s[72:73], v16, 16                         // 0000000046D0: D0C10048 00012110
	v_cmp_lt_i32_e64 s[74:75], v16, 17                         // 0000000046D8: D0C1004A 00012310
	v_cndmask_b32_e64 v88, v88, v31, s[72:73]                  // 0000000046E0: D1000058 01223F58
	v_cndmask_b32_e64 v89, v89, v31, s[74:75]                  // 0000000046E8: D1000059 012A3F59
	v_cmp_lt_i32_e64 s[72:73], v16, 18                         // 0000000046F0: D0C10048 00012510
	v_cmp_lt_i32_e64 s[74:75], v16, 19                         // 0000000046F8: D0C1004A 00012710
	v_cndmask_b32_e64 v90, v90, v31, s[72:73]                  // 000000004700: D100005A 01223F5A
	v_cndmask_b32_e64 v91, v91, v31, s[74:75]                  // 000000004708: D100005B 012A3F5B
	v_cmp_lt_i32_e64 s[72:73], v16, 24                         // 000000004710: D0C10048 00013110
	v_cmp_lt_i32_e64 s[74:75], v16, 25                         // 000000004718: D0C1004A 00013310
	v_cndmask_b32_e64 v92, v92, v31, s[72:73]                  // 000000004720: D100005C 01223F5C
	v_cndmask_b32_e64 v93, v93, v31, s[74:75]                  // 000000004728: D100005D 012A3F5D
	v_cmp_lt_i32_e64 s[72:73], v16, 26                         // 000000004730: D0C10048 00013510
	v_cmp_lt_i32_e64 s[74:75], v16, 27                         // 000000004738: D0C1004A 00013710
	v_cndmask_b32_e64 v94, v94, v31, s[72:73]                  // 000000004740: D100005E 01223F5E
	v_cndmask_b32_e64 v95, v95, v31, s[74:75]                  // 000000004748: D100005F 012A3F5F
	s_cmp_lt_i32 s52, s54                                      // 000000004750: BF043634
	s_cbranch_scc1 label_0559                                  // 000000004754: BF850043
	s_sub_i32 s40, s7, s52                                     // 000000004758: 81A83407
	v_sub_i32 v16, s40, v30                                    // 00000000475C: D29D0010 00023C28
	v_cmp_lt_i32_e64 s[72:73], 0, v16                          // 000000004764: D0C10048 00022080
	v_cmp_lt_i32_e64 s[74:75], 1, v16                          // 00000000476C: D0C1004A 00022081
	v_cndmask_b32_e64 v80, v31, v80, s[72:73]                  // 000000004774: D1000050 0122A11F
	v_cndmask_b32_e64 v81, v31, v81, s[74:75]                  // 00000000477C: D1000051 012AA31F
	v_cmp_lt_i32_e64 s[72:73], 2, v16                          // 000000004784: D0C10048 00022082
	v_cmp_lt_i32_e64 s[74:75], 3, v16                          // 00000000478C: D0C1004A 00022083
	v_cndmask_b32_e64 v82, v31, v82, s[72:73]                  // 000000004794: D1000052 0122A51F
	v_cndmask_b32_e64 v83, v31, v83, s[74:75]                  // 00000000479C: D1000053 012AA71F
	v_cmp_lt_i32_e64 s[72:73], 8, v16                          // 0000000047A4: D0C10048 00022088
	v_cmp_lt_i32_e64 s[74:75], 9, v16                          // 0000000047AC: D0C1004A 00022089
	v_cndmask_b32_e64 v84, v31, v84, s[72:73]                  // 0000000047B4: D1000054 0122A91F
	v_cndmask_b32_e64 v85, v31, v85, s[74:75]                  // 0000000047BC: D1000055 012AAB1F
	v_cmp_lt_i32_e64 s[72:73], 10, v16                         // 0000000047C4: D0C10048 0002208A
	v_cmp_lt_i32_e64 s[74:75], 11, v16                         // 0000000047CC: D0C1004A 0002208B
	v_cndmask_b32_e64 v86, v31, v86, s[72:73]                  // 0000000047D4: D1000056 0122AD1F
	v_cndmask_b32_e64 v87, v31, v87, s[74:75]                  // 0000000047DC: D1000057 012AAF1F
	v_cmp_lt_i32_e64 s[72:73], 16, v16                         // 0000000047E4: D0C10048 00022090
	v_cmp_lt_i32_e64 s[74:75], 17, v16                         // 0000000047EC: D0C1004A 00022091
	v_cndmask_b32_e64 v88, v31, v88, s[72:73]                  // 0000000047F4: D1000058 0122B11F
	v_cndmask_b32_e64 v89, v31, v89, s[74:75]                  // 0000000047FC: D1000059 012AB31F
	v_cmp_lt_i32_e64 s[72:73], 18, v16                         // 000000004804: D0C10048 00022092
	v_cmp_lt_i32_e64 s[74:75], 19, v16                         // 00000000480C: D0C1004A 00022093
	v_cndmask_b32_e64 v90, v31, v90, s[72:73]                  // 000000004814: D100005A 0122B51F
	v_cndmask_b32_e64 v91, v31, v91, s[74:75]                  // 00000000481C: D100005B 012AB71F
	v_cmp_lt_i32_e64 s[72:73], 24, v16                         // 000000004824: D0C10048 00022098
	v_cmp_lt_i32_e64 s[74:75], 25, v16                         // 00000000482C: D0C1004A 00022099
	v_cndmask_b32_e64 v92, v31, v92, s[72:73]                  // 000000004834: D100005C 0122B91F
	v_cndmask_b32_e64 v93, v31, v93, s[74:75]                  // 00000000483C: D100005D 012ABB1F
	v_cmp_lt_i32_e64 s[72:73], 26, v16                         // 000000004844: D0C10048 0002209A
	v_cmp_lt_i32_e64 s[74:75], 27, v16                         // 00000000484C: D0C1004A 0002209B
	v_cndmask_b32_e64 v94, v31, v94, s[72:73]                  // 000000004854: D100005E 0122BD1F
	v_cndmask_b32_e64 v95, v31, v95, s[74:75]                  // 00000000485C: D100005F 012ABF1F

0000000000004864 <label_0559>:
	s_waitcnt lgkmcnt(0)                                       // 000000004864: BF8CC07F
	s_barrier                                                  // 000000004868: BF8A0000
	v_mfma_f32_32x32x8_bf16 v[96:111], v[192:193], v[64:65], v[96:111]// 00000000486C: D3E00060 058281C0
	v_max3_f32 v25, v80, v81, v28                              // 000000004874: D1D30019 0472A350
	v_max3_f32 v25, v82, v83, v25                              // 00000000487C: D1D30019 0466A752
	v_max3_f32 v25, v84, v85, v25                              // 000000004884: D1D30019 0466AB54
	v_max3_f32 v25, v86, v87, v25                              // 00000000488C: D1D30019 0466AF56
	v_max3_f32 v25, v88, v89, v25                              // 000000004894: D1D30019 0466B358
	v_max3_f32 v25, v90, v91, v25                              // 00000000489C: D1D30019 0466B75A
	v_max3_f32 v25, v92, v93, v25                              // 0000000048A4: D1D30019 0466BB5C
	v_mfma_f32_32x32x8_bf16 v[96:111], v[194:195], v[66:67], v[96:111]// 0000000048AC: D3E00060 058285C2
	v_max3_f32 v25, v94, v95, v25                              // 0000000048B4: D1D30019 0466BF5E
	ds_permute_b32 v24, v32, v25                               // 0000000048BC: D87C0000 18001920
	v_mfma_f32_32x32x8_bf16 v[96:111], v[196:197], v[68:69], v[96:111]// 0000000048C4: D3E00060 058289C4
	v_nop                                                      // 0000000048CC: 7E000000
	s_nop 0                                                    // 0000000048D0: BF800000
	v_mfma_f32_32x32x8_bf16 v[96:111], v[198:199], v[70:71], v[96:111]// 0000000048D4: D3E00060 05828DC6
	v_nop                                                      // 0000000048DC: 7E000000
	v_mfma_f32_32x32x8_bf16 v[112:127], v[200:201], v[64:65], v[112:127]// 0000000048E0: D3E00070 05C281C8
	s_waitcnt lgkmcnt(0)                                       // 0000000048E8: BF8CC07F
	v_max_f32_e32 v25, v24, v25                                // 0000000048EC: 16323318
	v_sub_f32_e32 v20, v28, v25                                // 0000000048F0: 0428331C
	v_mov_b32_e32 v28, v25                                     // 0000000048F4: 7E380319
	v_mul_f32_e32 v27, s56, v25                                // 0000000048F8: 0A363238
	v_mul_f32_e32 v20, s56, v20                                // 0000000048FC: 0A282838
	v_mfma_f32_32x32x8_bf16 v[112:127], v[202:203], v[66:67], v[112:127]// 000000004900: D3E00070 05C285CA
	v_exp_f32_e32 v20, v20                                     // 000000004908: 7E284114
	v_fma_f32 v80, v80, s56, -v27                              // 00000000490C: D1CB0050 846C7150
	v_fma_f32 v81, v81, s56, -v27                              // 000000004914: D1CB0051 846C7151
	v_fma_f32 v82, v82, s56, -v27                              // 00000000491C: D1CB0052 846C7152
	v_mfma_f32_32x32x8_bf16 v[112:127], v[204:205], v[68:69], v[112:127]// 000000004924: D3E00070 05C289CC
	v_fma_f32 v83, v83, s56, -v27                              // 00000000492C: D1CB0053 846C7153
	v_fma_f32 v84, v84, s56, -v27                              // 000000004934: D1CB0054 846C7154
	v_fma_f32 v85, v85, s56, -v27                              // 00000000493C: D1CB0055 846C7155
	v_fma_f32 v86, v86, s56, -v27                              // 000000004944: D1CB0056 846C7156
	v_fma_f32 v87, v87, s56, -v27                              // 00000000494C: D1CB0057 846C7157
	v_fma_f32 v88, v88, s56, -v27                              // 000000004954: D1CB0058 846C7158
	v_fma_f32 v89, v89, s56, -v27                              // 00000000495C: D1CB0059 846C7159
	v_mfma_f32_32x32x8_bf16 v[112:127], v[206:207], v[70:71], v[112:127]// 000000004964: D3E00070 05C28DCE
	v_fma_f32 v90, v90, s56, -v27                              // 00000000496C: D1CB005A 846C715A
	v_fma_f32 v91, v91, s56, -v27                              // 000000004974: D1CB005B 846C715B
	v_fma_f32 v92, v92, s56, -v27                              // 00000000497C: D1CB005C 846C715C
	v_fma_f32 v93, v93, s56, -v27                              // 000000004984: D1CB005D 846C715D
	v_fma_f32 v94, v94, s56, -v27                              // 00000000498C: D1CB005E 846C715E
	v_fma_f32 v95, v95, s56, -v27                              // 000000004994: D1CB005F 846C715F
	v_exp_f32_e32 v80, v80                                     // 00000000499C: 7EA04150
	v_mfma_f32_32x32x8_bf16 v[128:143], v[208:209], v[64:65], v[128:143]// 0000000049A0: D3E00080 060281D0
	v_exp_f32_e32 v81, v81                                     // 0000000049A8: 7EA24151
	v_exp_f32_e32 v82, v82                                     // 0000000049AC: 7EA44152
	v_mfma_f32_32x32x8_bf16 v[128:143], v[210:211], v[66:67], v[128:143]// 0000000049B0: D3E00080 060285D2
	v_exp_f32_e32 v83, v83                                     // 0000000049B8: 7EA64153
	v_exp_f32_e32 v84, v84                                     // 0000000049BC: 7EA84154
	v_mfma_f32_32x32x8_bf16 v[128:143], v[212:213], v[68:69], v[128:143]// 0000000049C0: D3E00080 060289D4
	v_exp_f32_e32 v85, v85                                     // 0000000049C8: 7EAA4155
	v_exp_f32_e32 v86, v86                                     // 0000000049CC: 7EAC4156
	v_mfma_f32_32x32x8_bf16 v[128:143], v[214:215], v[70:71], v[128:143]// 0000000049D0: D3E00080 06028DD6
	v_exp_f32_e32 v87, v87                                     // 0000000049D8: 7EAE4157
	v_exp_f32_e32 v88, v88                                     // 0000000049DC: 7EB04158
	v_mfma_f32_32x32x8_bf16 v[144:159], v[216:217], v[64:65], v[144:159]// 0000000049E0: D3E00090 064281D8
	v_exp_f32_e32 v89, v89                                     // 0000000049E8: 7EB24159
	v_exp_f32_e32 v90, v90                                     // 0000000049EC: 7EB4415A
	v_mfma_f32_32x32x8_bf16 v[144:159], v[218:219], v[66:67], v[144:159]// 0000000049F0: D3E00090 064285DA
	v_exp_f32_e32 v91, v91                                     // 0000000049F8: 7EB6415B
	v_exp_f32_e32 v92, v92                                     // 0000000049FC: 7EB8415C
	v_mfma_f32_32x32x8_bf16 v[144:159], v[220:221], v[68:69], v[144:159]// 000000004A00: D3E00090 064289DC
	v_exp_f32_e32 v93, v93                                     // 000000004A08: 7EBA415D
	v_exp_f32_e32 v94, v94                                     // 000000004A0C: 7EBC415E
	v_mfma_f32_32x32x8_bf16 v[144:159], v[222:223], v[70:71], v[144:159]// 000000004A10: D3E00090 06428DDE
	s_waitcnt vmcnt(8)                                         // 000000004A18: BF8C0F78
	s_barrier                                                  // 000000004A1C: BF8A0000
	s_nop 11                                                   // 000000004A20: BF80000B
	s_nop 11                                                   // 000000004A24: BF80000B
	ds_read_b128 v[192:195], v12                               // 000000004A28: D9FE0000 C000000C
	ds_read_b128 v[196:199], v12 offset:32                     // 000000004A30: D9FE0020 C400000C
	ds_read_b128 v[200:203], v12 offset:64                     // 000000004A38: D9FE0040 C800000C
	ds_read_b128 v[204:207], v12 offset:96                     // 000000004A40: D9FE0060 CC00000C
	s_nop 15                                                   // 000000004A48: BF80000F
	s_nop 15                                                   // 000000004A4C: BF80000F
	s_nop 10                                                   // 000000004A50: BF80000A
	buffer_load_dword v224, v8, s[16:19], s35 offen            // 000000004A54: E0501000 2304E008
	ds_read_b128 v[208:211], v12 offset:128                    // 000000004A5C: D9FE0080 D000000C
	ds_read_b128 v[212:215], v12 offset:160                    // 000000004A64: D9FE00A0 D400000C
	buffer_load_dword v225, v9, s[16:19], s35 offen            // 000000004A6C: E0501000 2304E109
	ds_read_b128 v[216:219], v12 offset:192                    // 000000004A74: D9FE00C0 D800000C
	ds_read_b128 v[220:223], v12 offset:224                    // 000000004A7C: D9FE00E0 DC00000C
	buffer_load_dword v226, v10, s[16:19], s35 offen           // 000000004A84: E0501000 2304E20A
	buffer_load_dword v227, v11, s[16:19], s35 offen           // 000000004A8C: E0501000 2304E30B
	s_add_i32 s35, s44, s35                                    // 000000004A94: 8123232C
	s_add_u32 s40, 0x60, s39                                   // 000000004A98: 802827FF 00000060
	s_nop 0                                                    // 000000004AA0: BF800000
	s_cmp_lt_u32 s40, s38                                      // 000000004AA4: BF0A2628
	s_cselect_b32 s44, s44, 0                                  // 000000004AA8: 852C802C
	s_add_i32 s52, s52, s53                                    // 000000004AAC: 81343534
	s_addk_i32 s39, 0x20                                       // 000000004AB0: B7270020
	s_cmp_lt_i32 s39, s38                                      // 000000004AB4: BF042627
	s_nop 0                                                    // 000000004AB8: BF800000
	s_cbranch_scc0 label_0BBA                                  // 000000004ABC: BF8405CA
	s_waitcnt lgkmcnt(0)                                       // 000000004AC0: BF8CC07F
	v_mfma_f32_32x32x8_bf16 v[64:79], v[192:193], v[160:161], 0// 000000004AC4: D3E00040 020341C0
	v_exp_f32_e32 v95, v95                                     // 000000004ACC: 7EBE415F
	v_mul_f32_e32 v22, v20, v22                                // 000000004AD0: 0A2C2D14
	v_add_f32_e32 v38, v81, v80                                // 000000004AD4: 024CA151
	v_add_f32_e32 v38, v82, v38                                // 000000004AD8: 024C4D52
	v_mfma_f32_32x32x8_bf16 v[64:79], v[194:195], v[162:163], v[64:79]// 000000004ADC: D3E00040 050345C2
	v_add_f32_e32 v38, v83, v38                                // 000000004AE4: 024C4D53
	v_add_f32_e32 v38, v84, v38                                // 000000004AE8: 024C4D54
	v_add_f32_e32 v38, v85, v38                                // 000000004AEC: 024C4D55
	v_add_f32_e32 v38, v86, v38                                // 000000004AF0: 024C4D56
	v_add_f32_e32 v38, v87, v38                                // 000000004AF4: 024C4D57
	v_add_f32_e32 v38, v88, v38                                // 000000004AF8: 024C4D58
	v_add_f32_e32 v38, v89, v38                                // 000000004AFC: 024C4D59
	v_mfma_f32_32x32x8_bf16 v[64:79], v[196:197], v[164:165], v[64:79]// 000000004B00: D3E00040 050349C4
	v_add_f32_e32 v38, v90, v38                                // 000000004B08: 024C4D5A
	v_add_f32_e32 v38, v91, v38                                // 000000004B0C: 024C4D5B
	v_add_f32_e32 v38, v92, v38                                // 000000004B10: 024C4D5C
	v_add_f32_e32 v38, v93, v38                                // 000000004B14: 024C4D5D
	v_add_f32_e32 v38, v94, v38                                // 000000004B18: 024C4D5E
	v_add_f32_e32 v38, v95, v38                                // 000000004B1C: 024C4D5F
	v_add_f32_e32 v22, v38, v22                                // 000000004B20: 022C2D26
	v_mfma_f32_32x32x8_bf16 v[64:79], v[198:199], v[166:167], v[64:79]// 000000004B24: D3E00040 05034DC6
	v_mul_f32_e32 v96, v20, v96                                // 000000004B2C: 0AC0C114
	v_mul_f32_e32 v97, v20, v97                                // 000000004B30: 0AC2C314
	v_mul_f32_e32 v98, v20, v98                                // 000000004B34: 0AC4C514
	v_mul_f32_e32 v99, v20, v99                                // 000000004B38: 0AC6C714
	v_mul_f32_e32 v100, v20, v100                              // 000000004B3C: 0AC8C914
	v_mul_f32_e32 v101, v20, v101                              // 000000004B40: 0ACACB14
	v_mul_f32_e32 v102, v20, v102                              // 000000004B44: 0ACCCD14
	v_mfma_f32_32x32x8_bf16 v[64:79], v[200:201], v[168:169], v[64:79]// 000000004B48: D3E00040 050351C8
	v_mul_f32_e32 v103, v20, v103                              // 000000004B50: 0ACECF14
	v_mul_f32_e32 v104, v20, v104                              // 000000004B54: 0AD0D114
	v_mul_f32_e32 v105, v20, v105                              // 000000004B58: 0AD2D314
	v_mul_f32_e32 v106, v20, v106                              // 000000004B5C: 0AD4D514
	v_mul_f32_e32 v107, v20, v107                              // 000000004B60: 0AD6D714
	v_mul_f32_e32 v108, v20, v108                              // 000000004B64: 0AD8D914
	v_mul_f32_e32 v109, v20, v109                              // 000000004B68: 0ADADB14
	v_mfma_f32_32x32x8_bf16 v[64:79], v[202:203], v[170:171], v[64:79]// 000000004B6C: D3E00040 050355CA
	v_mul_f32_e32 v110, v20, v110                              // 000000004B74: 0ADCDD14
	v_mul_f32_e32 v111, v20, v111                              // 000000004B78: 0ADEDF14
	v_mul_f32_e32 v112, v20, v112                              // 000000004B7C: 0AE0E114
	v_mul_f32_e32 v113, v20, v113                              // 000000004B80: 0AE2E314
	v_mul_f32_e32 v114, v20, v114                              // 000000004B84: 0AE4E514
	v_mul_f32_e32 v115, v20, v115                              // 000000004B88: 0AE6E714
	v_mul_f32_e32 v116, v20, v116                              // 000000004B8C: 0AE8E914
	v_mfma_f32_32x32x8_bf16 v[64:79], v[204:205], v[172:173], v[64:79]// 000000004B90: D3E00040 050359CC
	v_mul_f32_e32 v117, v20, v117                              // 000000004B98: 0AEAEB14
	v_mul_f32_e32 v118, v20, v118                              // 000000004B9C: 0AECED14
	v_mul_f32_e32 v119, v20, v119                              // 000000004BA0: 0AEEEF14
	v_mul_f32_e32 v120, v20, v120                              // 000000004BA4: 0AF0F114
	v_mul_f32_e32 v121, v20, v121                              // 000000004BA8: 0AF2F314
	v_mul_f32_e32 v122, v20, v122                              // 000000004BAC: 0AF4F514
	v_mul_f32_e32 v123, v20, v123                              // 000000004BB0: 0AF6F714
	v_mfma_f32_32x32x8_bf16 v[64:79], v[206:207], v[174:175], v[64:79]// 000000004BB4: D3E00040 05035DCE
	v_mul_f32_e32 v124, v20, v124                              // 000000004BBC: 0AF8F914
	v_mul_f32_e32 v125, v20, v125                              // 000000004BC0: 0AFAFB14
	v_mul_f32_e32 v126, v20, v126                              // 000000004BC4: 0AFCFD14
	v_mul_f32_e32 v127, v20, v127                              // 000000004BC8: 0AFEFF14
	v_mul_f32_e32 v128, v20, v128                              // 000000004BCC: 0B010114
	v_mul_f32_e32 v129, v20, v129                              // 000000004BD0: 0B030314
	v_mul_f32_e32 v130, v20, v130                              // 000000004BD4: 0B050514
	v_mfma_f32_32x32x8_bf16 v[64:79], v[208:209], v[176:177], v[64:79]// 000000004BD8: D3E00040 050361D0
	v_mul_f32_e32 v131, v20, v131                              // 000000004BE0: 0B070714
	v_mul_f32_e32 v132, v20, v132                              // 000000004BE4: 0B090914
	v_mul_f32_e32 v133, v20, v133                              // 000000004BE8: 0B0B0B14
	v_mul_f32_e32 v134, v20, v134                              // 000000004BEC: 0B0D0D14
	v_mul_f32_e32 v135, v20, v135                              // 000000004BF0: 0B0F0F14
	v_mul_f32_e32 v136, v20, v136                              // 000000004BF4: 0B111114
	v_mul_f32_e32 v137, v20, v137                              // 000000004BF8: 0B131314
	v_mfma_f32_32x32x8_bf16 v[64:79], v[210:211], v[178:179], v[64:79]// 000000004BFC: D3E00040 050365D2
	v_mul_f32_e32 v138, v20, v138                              // 000000004C04: 0B151514
	v_mul_f32_e32 v139, v20, v139                              // 000000004C08: 0B171714
	v_mul_f32_e32 v140, v20, v140                              // 000000004C0C: 0B191914
	v_mul_f32_e32 v141, v20, v141                              // 000000004C10: 0B1B1B14
	v_mul_f32_e32 v142, v20, v142                              // 000000004C14: 0B1D1D14
	v_mul_f32_e32 v143, v20, v143                              // 000000004C18: 0B1F1F14
	v_mul_f32_e32 v144, v20, v144                              // 000000004C1C: 0B212114
	v_mfma_f32_32x32x8_bf16 v[64:79], v[212:213], v[180:181], v[64:79]// 000000004C20: D3E00040 050369D4
	v_mul_f32_e32 v145, v20, v145                              // 000000004C28: 0B232314
	v_mul_f32_e32 v146, v20, v146                              // 000000004C2C: 0B252514
	v_mul_f32_e32 v147, v20, v147                              // 000000004C30: 0B272714
	v_mul_f32_e32 v148, v20, v148                              // 000000004C34: 0B292914
	v_mul_f32_e32 v149, v20, v149                              // 000000004C38: 0B2B2B14
	v_mul_f32_e32 v150, v20, v150                              // 000000004C3C: 0B2D2D14
	v_mul_f32_e32 v151, v20, v151                              // 000000004C40: 0B2F2F14
	v_mfma_f32_32x32x8_bf16 v[64:79], v[214:215], v[182:183], v[64:79]// 000000004C44: D3E00040 05036DD6
	s_waitcnt vmcnt(8)                                         // 000000004C4C: BF8C0F78
	s_barrier                                                  // 000000004C50: BF8A0000
	v_mfma_f32_32x32x8_bf16 v[64:79], v[216:217], v[184:185], v[64:79]// 000000004C54: D3E00040 050371D8
	v_mul_f32_e32 v152, v20, v152                              // 000000004C5C: 0B313114
	v_mul_f32_e32 v153, v20, v153                              // 000000004C60: 0B333314
	v_mul_f32_e32 v154, v20, v154                              // 000000004C64: 0B353514
	v_mul_f32_e32 v155, v20, v155                              // 000000004C68: 0B373714
	v_mul_f32_e32 v156, v20, v156                              // 000000004C6C: 0B393914
	v_mul_f32_e32 v157, v20, v157                              // 000000004C70: 0B3B3B14
	v_mul_f32_e32 v158, v20, v158                              // 000000004C74: 0B3D3D14
	v_mfma_f32_32x32x8_bf16 v[64:79], v[218:219], v[186:187], v[64:79]// 000000004C78: D3E00040 050375DA
	v_mul_f32_e32 v159, v20, v159                              // 000000004C80: 0B3F3F14
	v_perm_b32 v80, v81, v80, s49                              // 000000004C84: D1ED0050 00C6A151
	v_perm_b32 v81, v83, v82, s49                              // 000000004C8C: D1ED0051 00C6A553
	v_perm_b32 v82, v85, v84, s49                              // 000000004C94: D1ED0052 00C6A955
	v_mfma_f32_32x32x8_bf16 v[64:79], v[220:221], v[188:189], v[64:79]// 000000004C9C: D3E00040 050379DC
	v_perm_b32 v83, v87, v86, s49                              // 000000004CA4: D1ED0053 00C6AD57
	v_perm_b32 v84, v89, v88, s49                              // 000000004CAC: D1ED0054 00C6B159
	v_perm_b32 v85, v91, v90, s49                              // 000000004CB4: D1ED0055 00C6B55B
	v_perm_b32 v86, v93, v92, s49                              // 000000004CBC: D1ED0056 00C6B95D
	v_perm_b32 v87, v95, v94, s49                              // 000000004CC4: D1ED0057 00C6BD5F
	v_mfma_f32_32x32x8_bf16 v[64:79], v[222:223], v[190:191], v[64:79]// 000000004CCC: D3E00040 05037DDE
	v_perm_b32 v232, v229, v228, s50                           // 000000004CD4: D1ED00E8 00CBC9E5
	v_perm_b32 v234, v229, v228, s49                           // 000000004CDC: D1ED00EA 00C7C9E5
	v_perm_b32 v233, v231, v230, s50                           // 000000004CE4: D1ED00E9 00CBCDE7
	v_perm_b32 v235, v231, v230, s49                           // 000000004CEC: D1ED00EB 00C7CDE7
	s_barrier                                                  // 000000004CF4: BF8A0000
	ds_write_b64 v14, v[232:233] offset:17408                  // 000000004CF8: D89A4400 0000E80E
	ds_write_b64 v14, v[234:235] offset:21568                  // 000000004D00: D89A5440 0000EA0E
	s_waitcnt lgkmcnt(0)                                       // 000000004D08: BF8CC07F
	s_barrier                                                  // 000000004D0C: BF8A0000
	s_mov_b32 m0, s68                                          // 000000004D10: BEFC0044
	ds_read_b64 v[192:193], v13 offset:17408                   // 000000004D14: D8EC4400 C000000D
	ds_read_b64 v[194:195], v13 offset:18432                   // 000000004D1C: D8EC4800 C200000D
	ds_read_b64 v[196:197], v13 offset:19456                   // 000000004D24: D8EC4C00 C400000D
	ds_read_b64 v[198:199], v13 offset:20480                   // 000000004D2C: D8EC5000 C600000D
	buffer_load_dword v4, s[12:15], s60 offen lds              // 000000004D34: E0511000 3C030004
	s_add_u32 m0, 0x880, m0                                    // 000000004D3C: 807C7CFF 00000880
	ds_read_b64 v[200:201], v13 offset:17536                   // 000000004D44: D8EC4480 C800000D
	ds_read_b64 v[202:203], v13 offset:18560                   // 000000004D4C: D8EC4880 CA00000D
	ds_read_b64 v[204:205], v13 offset:19584                   // 000000004D54: D8EC4C80 CC00000D
	ds_read_b64 v[206:207], v13 offset:20608                   // 000000004D5C: D8EC5080 CE00000D
	buffer_load_dword v5, s[12:15], s60 offen lds              // 000000004D64: E0511000 3C030005
	s_add_u32 m0, 0x880, m0                                    // 000000004D6C: 807C7CFF 00000880
	ds_read_b64 v[208:209], v13 offset:17664                   // 000000004D74: D8EC4500 D000000D
	ds_read_b64 v[210:211], v13 offset:18688                   // 000000004D7C: D8EC4900 D200000D
	ds_read_b64 v[212:213], v13 offset:19712                   // 000000004D84: D8EC4D00 D400000D
	ds_read_b64 v[214:215], v13 offset:20736                   // 000000004D8C: D8EC5100 D600000D
	buffer_load_dword v6, s[12:15], s60 offen lds              // 000000004D94: E0511000 3C030006
	s_add_u32 m0, 0x880, m0                                    // 000000004D9C: 807C7CFF 00000880
	ds_read_b64 v[216:217], v13 offset:17792                   // 000000004DA4: D8EC4580 D800000D
	ds_read_b64 v[218:219], v13 offset:18816                   // 000000004DAC: D8EC4980 DA00000D
	ds_read_b64 v[220:221], v13 offset:19840                   // 000000004DB4: D8EC4D80 DC00000D
	ds_read_b64 v[222:223], v13 offset:20864                   // 000000004DBC: D8EC5180 DE00000D
	buffer_load_dword v7, s[12:15], s60 offen lds              // 000000004DC4: E0511000 3C030007
	s_add_u32 m0, 0x880, m0                                    // 000000004DCC: 807C7CFF 00000880
	s_add_i32 s60, s43, s60                                    // 000000004DD4: 813C3C2B
	s_add_u32 s40, 0x80, s39                                   // 000000004DD8: 802827FF 00000080
	s_cmp_lt_u32 s40, s38                                      // 000000004DE0: BF0A2628
	s_cselect_b32 s43, s43, 0                                  // 000000004DE4: 852B802B
	s_nop 0                                                    // 000000004DE8: BF800000
	s_cmp_lt_i32 s52, s51                                      // 000000004DEC: BF043334
	s_cbranch_scc1 label_0748                                  // 000000004DF0: BF85008B
	s_sub_i32 s40, s51, s52                                    // 000000004DF4: 81A83433
	s_sub_i32 s41, s7, s30                                     // 000000004DF8: 81A91E07
	s_and_b32 s41, s41, 31                                     // 000000004DFC: 86299F29
	s_add_i32 s40, s40, s41                                    // 000000004E00: 81282928
	v_add_i32 v16, v29, s40                                    // 000000004E04: D29C0010 0000511D
	v_cmp_lt_i32_e64 s[72:73], v16, 0                          // 000000004E0C: D0C10048 00010110
	v_cmp_lt_i32_e64 s[74:75], v16, 1                          // 000000004E14: D0C1004A 00010310
	v_cndmask_b32_e64 v64, v64, v31, s[72:73]                  // 000000004E1C: D1000040 01223F40
	v_cndmask_b32_e64 v65, v65, v31, s[74:75]                  // 000000004E24: D1000041 012A3F41
	v_cmp_lt_i32_e64 s[72:73], v16, 2                          // 000000004E2C: D0C10048 00010510
	v_cmp_lt_i32_e64 s[74:75], v16, 3                          // 000000004E34: D0C1004A 00010710
	v_cndmask_b32_e64 v66, v66, v31, s[72:73]                  // 000000004E3C: D1000042 01223F42
	v_cndmask_b32_e64 v67, v67, v31, s[74:75]                  // 000000004E44: D1000043 012A3F43
	v_cmp_lt_i32_e64 s[72:73], v16, 8                          // 000000004E4C: D0C10048 00011110
	v_cmp_lt_i32_e64 s[74:75], v16, 9                          // 000000004E54: D0C1004A 00011310
	v_cndmask_b32_e64 v68, v68, v31, s[72:73]                  // 000000004E5C: D1000044 01223F44
	v_cndmask_b32_e64 v69, v69, v31, s[74:75]                  // 000000004E64: D1000045 012A3F45
	v_cmp_lt_i32_e64 s[72:73], v16, 10                         // 000000004E6C: D0C10048 00011510
	v_cmp_lt_i32_e64 s[74:75], v16, 11                         // 000000004E74: D0C1004A 00011710
	v_cndmask_b32_e64 v70, v70, v31, s[72:73]                  // 000000004E7C: D1000046 01223F46
	v_cndmask_b32_e64 v71, v71, v31, s[74:75]                  // 000000004E84: D1000047 012A3F47
	v_cmp_lt_i32_e64 s[72:73], v16, 16                         // 000000004E8C: D0C10048 00012110
	v_cmp_lt_i32_e64 s[74:75], v16, 17                         // 000000004E94: D0C1004A 00012310
	v_cndmask_b32_e64 v72, v72, v31, s[72:73]                  // 000000004E9C: D1000048 01223F48
	v_cndmask_b32_e64 v73, v73, v31, s[74:75]                  // 000000004EA4: D1000049 012A3F49
	v_cmp_lt_i32_e64 s[72:73], v16, 18                         // 000000004EAC: D0C10048 00012510
	v_cmp_lt_i32_e64 s[74:75], v16, 19                         // 000000004EB4: D0C1004A 00012710
	v_cndmask_b32_e64 v74, v74, v31, s[72:73]                  // 000000004EBC: D100004A 01223F4A
	v_cndmask_b32_e64 v75, v75, v31, s[74:75]                  // 000000004EC4: D100004B 012A3F4B
	v_cmp_lt_i32_e64 s[72:73], v16, 24                         // 000000004ECC: D0C10048 00013110
	v_cmp_lt_i32_e64 s[74:75], v16, 25                         // 000000004ED4: D0C1004A 00013310
	v_cndmask_b32_e64 v76, v76, v31, s[72:73]                  // 000000004EDC: D100004C 01223F4C
	v_cndmask_b32_e64 v77, v77, v31, s[74:75]                  // 000000004EE4: D100004D 012A3F4D
	v_cmp_lt_i32_e64 s[72:73], v16, 26                         // 000000004EEC: D0C10048 00013510
	v_cmp_lt_i32_e64 s[74:75], v16, 27                         // 000000004EF4: D0C1004A 00013710
	v_cndmask_b32_e64 v78, v78, v31, s[72:73]                  // 000000004EFC: D100004E 01223F4E
	v_cndmask_b32_e64 v79, v79, v31, s[74:75]                  // 000000004F04: D100004F 012A3F4F
	s_cmp_lt_i32 s52, s54                                      // 000000004F0C: BF043634
	s_cbranch_scc1 label_0748                                  // 000000004F10: BF850043
	s_sub_i32 s40, s7, s52                                     // 000000004F14: 81A83407
	v_sub_i32 v16, s40, v30                                    // 000000004F18: D29D0010 00023C28
	v_cmp_lt_i32_e64 s[72:73], 0, v16                          // 000000004F20: D0C10048 00022080
	v_cmp_lt_i32_e64 s[74:75], 1, v16                          // 000000004F28: D0C1004A 00022081
	v_cndmask_b32_e64 v64, v31, v64, s[72:73]                  // 000000004F30: D1000040 0122811F
	v_cndmask_b32_e64 v65, v31, v65, s[74:75]                  // 000000004F38: D1000041 012A831F
	v_cmp_lt_i32_e64 s[72:73], 2, v16                          // 000000004F40: D0C10048 00022082
	v_cmp_lt_i32_e64 s[74:75], 3, v16                          // 000000004F48: D0C1004A 00022083
	v_cndmask_b32_e64 v66, v31, v66, s[72:73]                  // 000000004F50: D1000042 0122851F
	v_cndmask_b32_e64 v67, v31, v67, s[74:75]                  // 000000004F58: D1000043 012A871F
	v_cmp_lt_i32_e64 s[72:73], 8, v16                          // 000000004F60: D0C10048 00022088
	v_cmp_lt_i32_e64 s[74:75], 9, v16                          // 000000004F68: D0C1004A 00022089
	v_cndmask_b32_e64 v68, v31, v68, s[72:73]                  // 000000004F70: D1000044 0122891F
	v_cndmask_b32_e64 v69, v31, v69, s[74:75]                  // 000000004F78: D1000045 012A8B1F
	v_cmp_lt_i32_e64 s[72:73], 10, v16                         // 000000004F80: D0C10048 0002208A
	v_cmp_lt_i32_e64 s[74:75], 11, v16                         // 000000004F88: D0C1004A 0002208B
	v_cndmask_b32_e64 v70, v31, v70, s[72:73]                  // 000000004F90: D1000046 01228D1F
	v_cndmask_b32_e64 v71, v31, v71, s[74:75]                  // 000000004F98: D1000047 012A8F1F
	v_cmp_lt_i32_e64 s[72:73], 16, v16                         // 000000004FA0: D0C10048 00022090
	v_cmp_lt_i32_e64 s[74:75], 17, v16                         // 000000004FA8: D0C1004A 00022091
	v_cndmask_b32_e64 v72, v31, v72, s[72:73]                  // 000000004FB0: D1000048 0122911F
	v_cndmask_b32_e64 v73, v31, v73, s[74:75]                  // 000000004FB8: D1000049 012A931F
	v_cmp_lt_i32_e64 s[72:73], 18, v16                         // 000000004FC0: D0C10048 00022092
	v_cmp_lt_i32_e64 s[74:75], 19, v16                         // 000000004FC8: D0C1004A 00022093
	v_cndmask_b32_e64 v74, v31, v74, s[72:73]                  // 000000004FD0: D100004A 0122951F
	v_cndmask_b32_e64 v75, v31, v75, s[74:75]                  // 000000004FD8: D100004B 012A971F
	v_cmp_lt_i32_e64 s[72:73], 24, v16                         // 000000004FE0: D0C10048 00022098
	v_cmp_lt_i32_e64 s[74:75], 25, v16                         // 000000004FE8: D0C1004A 00022099
	v_cndmask_b32_e64 v76, v31, v76, s[72:73]                  // 000000004FF0: D100004C 0122991F
	v_cndmask_b32_e64 v77, v31, v77, s[74:75]                  // 000000004FF8: D100004D 012A9B1F
	v_cmp_lt_i32_e64 s[72:73], 26, v16                         // 000000005000: D0C10048 0002209A
	v_cmp_lt_i32_e64 s[74:75], 27, v16                         // 000000005008: D0C1004A 0002209B
	v_cndmask_b32_e64 v78, v31, v78, s[72:73]                  // 000000005010: D100004E 01229D1F
	v_cndmask_b32_e64 v79, v31, v79, s[74:75]                  // 000000005018: D100004F 012A9F1F

0000000000005020 <label_0748>:
	s_waitcnt lgkmcnt(0)                                       // 000000005020: BF8CC07F
	s_barrier                                                  // 000000005024: BF8A0000
	v_mfma_f32_32x32x8_bf16 v[96:111], v[192:193], v[80:81], v[96:111]// 000000005028: D3E00060 0582A1C0
	v_max3_f32 v25, v64, v65, v28                              // 000000005030: D1D30019 04728340
	v_max3_f32 v25, v66, v67, v25                              // 000000005038: D1D30019 04668742
	v_max3_f32 v25, v68, v69, v25                              // 000000005040: D1D30019 04668B44
	v_max3_f32 v25, v70, v71, v25                              // 000000005048: D1D30019 04668F46
	v_max3_f32 v25, v72, v73, v25                              // 000000005050: D1D30019 04669348
	v_max3_f32 v25, v74, v75, v25                              // 000000005058: D1D30019 0466974A
	v_max3_f32 v25, v76, v77, v25                              // 000000005060: D1D30019 04669B4C
	v_mfma_f32_32x32x8_bf16 v[96:111], v[194:195], v[82:83], v[96:111]// 000000005068: D3E00060 0582A5C2
	v_max3_f32 v25, v78, v79, v25                              // 000000005070: D1D30019 04669F4E
	ds_permute_b32 v24, v32, v25                               // 000000005078: D87C0000 18001920
	v_mfma_f32_32x32x8_bf16 v[96:111], v[196:197], v[84:85], v[96:111]// 000000005080: D3E00060 0582A9C4
	v_nop                                                      // 000000005088: 7E000000
	s_nop 0                                                    // 00000000508C: BF800000
	v_mfma_f32_32x32x8_bf16 v[96:111], v[198:199], v[86:87], v[96:111]// 000000005090: D3E00060 0582ADC6
	v_nop                                                      // 000000005098: 7E000000
	v_mfma_f32_32x32x8_bf16 v[112:127], v[200:201], v[80:81], v[112:127]// 00000000509C: D3E00070 05C2A1C8
	s_waitcnt lgkmcnt(0)                                       // 0000000050A4: BF8CC07F
	v_max_f32_e32 v25, v24, v25                                // 0000000050A8: 16323318
	v_sub_f32_e32 v20, v28, v25                                // 0000000050AC: 0428331C
	v_mov_b32_e32 v28, v25                                     // 0000000050B0: 7E380319
	v_mul_f32_e32 v27, s56, v25                                // 0000000050B4: 0A363238
	v_mul_f32_e32 v20, s56, v20                                // 0000000050B8: 0A282838
	v_mfma_f32_32x32x8_bf16 v[112:127], v[202:203], v[82:83], v[112:127]// 0000000050BC: D3E00070 05C2A5CA
	v_exp_f32_e32 v20, v20                                     // 0000000050C4: 7E284114
	v_fma_f32 v64, v64, s56, -v27                              // 0000000050C8: D1CB0040 846C7140
	v_fma_f32 v65, v65, s56, -v27                              // 0000000050D0: D1CB0041 846C7141
	v_fma_f32 v66, v66, s56, -v27                              // 0000000050D8: D1CB0042 846C7142
	v_mfma_f32_32x32x8_bf16 v[112:127], v[204:205], v[84:85], v[112:127]// 0000000050E0: D3E00070 05C2A9CC
	v_fma_f32 v67, v67, s56, -v27                              // 0000000050E8: D1CB0043 846C7143
	v_fma_f32 v68, v68, s56, -v27                              // 0000000050F0: D1CB0044 846C7144
	v_fma_f32 v69, v69, s56, -v27                              // 0000000050F8: D1CB0045 846C7145
	v_fma_f32 v70, v70, s56, -v27                              // 000000005100: D1CB0046 846C7146
	v_fma_f32 v71, v71, s56, -v27                              // 000000005108: D1CB0047 846C7147
	v_fma_f32 v72, v72, s56, -v27                              // 000000005110: D1CB0048 846C7148
	v_fma_f32 v73, v73, s56, -v27                              // 000000005118: D1CB0049 846C7149
	v_mfma_f32_32x32x8_bf16 v[112:127], v[206:207], v[86:87], v[112:127]// 000000005120: D3E00070 05C2ADCE
	v_fma_f32 v74, v74, s56, -v27                              // 000000005128: D1CB004A 846C714A
	v_fma_f32 v75, v75, s56, -v27                              // 000000005130: D1CB004B 846C714B
	v_fma_f32 v76, v76, s56, -v27                              // 000000005138: D1CB004C 846C714C
	v_fma_f32 v77, v77, s56, -v27                              // 000000005140: D1CB004D 846C714D
	v_fma_f32 v78, v78, s56, -v27                              // 000000005148: D1CB004E 846C714E
	v_fma_f32 v79, v79, s56, -v27                              // 000000005150: D1CB004F 846C714F
	v_exp_f32_e32 v64, v64                                     // 000000005158: 7E804140
	v_mfma_f32_32x32x8_bf16 v[128:143], v[208:209], v[80:81], v[128:143]// 00000000515C: D3E00080 0602A1D0
	v_exp_f32_e32 v65, v65                                     // 000000005164: 7E824141
	v_exp_f32_e32 v66, v66                                     // 000000005168: 7E844142
	v_mfma_f32_32x32x8_bf16 v[128:143], v[210:211], v[82:83], v[128:143]// 00000000516C: D3E00080 0602A5D2
	v_exp_f32_e32 v67, v67                                     // 000000005174: 7E864143
	v_exp_f32_e32 v68, v68                                     // 000000005178: 7E884144
	v_mfma_f32_32x32x8_bf16 v[128:143], v[212:213], v[84:85], v[128:143]// 00000000517C: D3E00080 0602A9D4
	v_exp_f32_e32 v69, v69                                     // 000000005184: 7E8A4145
	v_exp_f32_e32 v70, v70                                     // 000000005188: 7E8C4146
	v_mfma_f32_32x32x8_bf16 v[128:143], v[214:215], v[86:87], v[128:143]// 00000000518C: D3E00080 0602ADD6
	v_exp_f32_e32 v71, v71                                     // 000000005194: 7E8E4147
	v_exp_f32_e32 v72, v72                                     // 000000005198: 7E904148
	v_mfma_f32_32x32x8_bf16 v[144:159], v[216:217], v[80:81], v[144:159]// 00000000519C: D3E00090 0642A1D8
	v_exp_f32_e32 v73, v73                                     // 0000000051A4: 7E924149
	v_exp_f32_e32 v74, v74                                     // 0000000051A8: 7E94414A
	v_mfma_f32_32x32x8_bf16 v[144:159], v[218:219], v[82:83], v[144:159]// 0000000051AC: D3E00090 0642A5DA
	v_exp_f32_e32 v75, v75                                     // 0000000051B4: 7E96414B
	v_exp_f32_e32 v76, v76                                     // 0000000051B8: 7E98414C
	v_mfma_f32_32x32x8_bf16 v[144:159], v[220:221], v[84:85], v[144:159]// 0000000051BC: D3E00090 0642A9DC
	v_exp_f32_e32 v77, v77                                     // 0000000051C4: 7E9A414D
	v_exp_f32_e32 v78, v78                                     // 0000000051C8: 7E9C414E
	v_mfma_f32_32x32x8_bf16 v[144:159], v[222:223], v[86:87], v[144:159]// 0000000051CC: D3E00090 0642ADDE
	s_nop 0                                                    // 0000000051D4: BF800000
	s_waitcnt vmcnt(8)                                         // 0000000051D8: BF8C0F78
	s_barrier                                                  // 0000000051DC: BF8A0000
	s_nop 11                                                   // 0000000051E0: BF80000B
	s_nop 11                                                   // 0000000051E4: BF80000B
	ds_read_b128 v[192:195], v12 offset:8704                   // 0000000051E8: D9FE2200 C000000C
	ds_read_b128 v[196:199], v12 offset:8736                   // 0000000051F0: D9FE2220 C400000C
	ds_read_b128 v[200:203], v12 offset:8768                   // 0000000051F8: D9FE2240 C800000C
	ds_read_b128 v[204:207], v12 offset:8800                   // 000000005200: D9FE2260 CC00000C
	s_nop 15                                                   // 000000005208: BF80000F
	s_nop 15                                                   // 00000000520C: BF80000F
	s_nop 10                                                   // 000000005210: BF80000A
	buffer_load_dword v228, v8, s[16:19], s35 offen            // 000000005214: E0501000 2304E408
	ds_read_b128 v[208:211], v12 offset:8832                   // 00000000521C: D9FE2280 D000000C
	ds_read_b128 v[212:215], v12 offset:8864                   // 000000005224: D9FE22A0 D400000C
	buffer_load_dword v229, v9, s[16:19], s35 offen            // 00000000522C: E0501000 2304E509
	ds_read_b128 v[216:219], v12 offset:8896                   // 000000005234: D9FE22C0 D800000C
	ds_read_b128 v[220:223], v12 offset:8928                   // 00000000523C: D9FE22E0 DC00000C
	buffer_load_dword v230, v10, s[16:19], s35 offen           // 000000005244: E0501000 2304E60A
	buffer_load_dword v231, v11, s[16:19], s35 offen           // 00000000524C: E0501000 2304E70B
	s_add_i32 s35, s44, s35                                    // 000000005254: 8123232C
	s_add_u32 s40, 0x60, s39                                   // 000000005258: 802827FF 00000060
	s_nop 0                                                    // 000000005260: BF800000
	s_cmp_lt_u32 s40, s38                                      // 000000005264: BF0A2628
	s_cselect_b32 s44, s44, 0                                  // 000000005268: 852C802C
	s_add_i32 s52, s52, s53                                    // 00000000526C: 81343534
	s_addk_i32 s39, 0x20                                       // 000000005270: B7270020
	s_cmp_lt_i32 s39, s38                                      // 000000005274: BF042627
	s_nop 0                                                    // 000000005278: BF800000
	s_cbranch_scc0 label_0BBA                                  // 00000000527C: BF8403DA
	s_branch label_0401                                        // 000000005280: BF82FC20

0000000000005284 <label_07E1>:
	s_setprio 1                                                // 000000005284: BF8F0001
	s_barrier                                                  // 000000005288: BF8A0000

000000000000528c <label_07E3>:
	buffer_load_dword v228, v8, s[16:19], s35 offen            // 00000000528C: E0501000 2304E408
	ds_read_b128 v[192:195], v12 offset:8704                   // 000000005294: D9FE2200 C000000C
	ds_read_b128 v[196:199], v12 offset:8736                   // 00000000529C: D9FE2220 C400000C
	buffer_load_dword v229, v9, s[16:19], s35 offen            // 0000000052A4: E0501000 2304E509
	ds_read_b128 v[200:203], v12 offset:8768                   // 0000000052AC: D9FE2240 C800000C
	ds_read_b128 v[204:207], v12 offset:8800                   // 0000000052B4: D9FE2260 CC00000C
	buffer_load_dword v230, v10, s[16:19], s35 offen           // 0000000052BC: E0501000 2304E60A
	ds_read_b128 v[208:211], v12 offset:8832                   // 0000000052C4: D9FE2280 D000000C
	ds_read_b128 v[212:215], v12 offset:8864                   // 0000000052CC: D9FE22A0 D400000C
	buffer_load_dword v231, v11, s[16:19], s35 offen           // 0000000052D4: E0501000 2304E70B
	ds_read_b128 v[216:219], v12 offset:8896                   // 0000000052DC: D9FE22C0 D800000C
	ds_read_b128 v[220:223], v12 offset:8928                   // 0000000052E4: D9FE22E0 DC00000C
	s_add_i32 s35, s44, s35                                    // 0000000052EC: 8123232C
	s_add_u32 s40, 64, s39                                     // 0000000052F0: 802827C0
	s_nop 0                                                    // 0000000052F4: BF800000
	s_cmp_lt_u32 s40, s38                                      // 0000000052F8: BF0A2628
	s_cselect_b32 s44, s44, 0                                  // 0000000052FC: 852C802C
	s_waitcnt vmcnt(8) lgkmcnt(0)                              // 000000005300: BF8C0078
	s_barrier                                                  // 000000005304: BF8A0000
	v_perm_b32 v232, v225, v224, s50                           // 000000005308: D1ED00E8 00CBC1E1
	v_perm_b32 v234, v225, v224, s49                           // 000000005310: D1ED00EA 00C7C1E1
	v_perm_b32 v233, v227, v226, s50                           // 000000005318: D1ED00E9 00CBC5E3
	v_perm_b32 v235, v227, v226, s49                           // 000000005320: D1ED00EB 00C7C5E3
	ds_write_b64 v14, v[232:233] offset:17408                  // 000000005328: D89A4400 0000E80E
	ds_write_b64 v14, v[234:235] offset:21568                  // 000000005330: D89A5440 0000EA0E
	s_nop 0                                                    // 000000005338: BF800000
	s_barrier                                                  // 00000000533C: BF8A0000
	v_mfma_f32_32x32x8_bf16 v[80:95], v[192:193], v[160:161], 0// 000000005340: D3E00050 020341C0
	v_exp_f32_e32 v79, v79                                     // 000000005348: 7E9E414F
	v_mul_f32_e32 v22, v20, v22                                // 00000000534C: 0A2C2D14
	v_add_f32_e32 v38, v65, v64                                // 000000005350: 024C8141
	v_add_f32_e32 v38, v66, v38                                // 000000005354: 024C4D42
	v_mfma_f32_32x32x8_bf16 v[80:95], v[194:195], v[162:163], v[80:95]// 000000005358: D3E00050 054345C2
	v_add_f32_e32 v38, v67, v38                                // 000000005360: 024C4D43
	v_add_f32_e32 v38, v68, v38                                // 000000005364: 024C4D44
	v_add_f32_e32 v38, v69, v38                                // 000000005368: 024C4D45
	v_add_f32_e32 v38, v70, v38                                // 00000000536C: 024C4D46
	v_add_f32_e32 v38, v71, v38                                // 000000005370: 024C4D47
	v_add_f32_e32 v38, v72, v38                                // 000000005374: 024C4D48
	v_add_f32_e32 v38, v73, v38                                // 000000005378: 024C4D49
	v_mfma_f32_32x32x8_bf16 v[80:95], v[196:197], v[164:165], v[80:95]// 00000000537C: D3E00050 054349C4
	v_add_f32_e32 v38, v74, v38                                // 000000005384: 024C4D4A
	v_add_f32_e32 v38, v75, v38                                // 000000005388: 024C4D4B
	v_add_f32_e32 v38, v76, v38                                // 00000000538C: 024C4D4C
	v_add_f32_e32 v38, v77, v38                                // 000000005390: 024C4D4D
	v_add_f32_e32 v38, v78, v38                                // 000000005394: 024C4D4E
	v_add_f32_e32 v38, v79, v38                                // 000000005398: 024C4D4F
	v_add_f32_e32 v22, v38, v22                                // 00000000539C: 022C2D26
	v_mfma_f32_32x32x8_bf16 v[80:95], v[198:199], v[166:167], v[80:95]// 0000000053A0: D3E00050 05434DC6
	s_waitcnt lgkmcnt(0)                                       // 0000000053A8: BF8CC07F
	s_barrier                                                  // 0000000053AC: BF8A0000
	v_mfma_f32_32x32x8_bf16 v[80:95], v[200:201], v[168:169], v[80:95]// 0000000053B0: D3E00050 054351C8
	v_mul_f32_e32 v96, v20, v96                                // 0000000053B8: 0AC0C114
	v_mul_f32_e32 v97, v20, v97                                // 0000000053BC: 0AC2C314
	v_mul_f32_e32 v98, v20, v98                                // 0000000053C0: 0AC4C514
	v_mul_f32_e32 v99, v20, v99                                // 0000000053C4: 0AC6C714
	v_mul_f32_e32 v100, v20, v100                              // 0000000053C8: 0AC8C914
	v_mul_f32_e32 v101, v20, v101                              // 0000000053CC: 0ACACB14
	v_mul_f32_e32 v102, v20, v102                              // 0000000053D0: 0ACCCD14
	v_mfma_f32_32x32x8_bf16 v[80:95], v[202:203], v[170:171], v[80:95]// 0000000053D4: D3E00050 054355CA
	v_mul_f32_e32 v103, v20, v103                              // 0000000053DC: 0ACECF14
	v_mul_f32_e32 v104, v20, v104                              // 0000000053E0: 0AD0D114
	v_mul_f32_e32 v105, v20, v105                              // 0000000053E4: 0AD2D314
	v_mul_f32_e32 v106, v20, v106                              // 0000000053E8: 0AD4D514
	v_mul_f32_e32 v107, v20, v107                              // 0000000053EC: 0AD6D714
	v_mul_f32_e32 v108, v20, v108                              // 0000000053F0: 0AD8D914
	v_mul_f32_e32 v109, v20, v109                              // 0000000053F4: 0ADADB14
	v_mfma_f32_32x32x8_bf16 v[80:95], v[204:205], v[172:173], v[80:95]// 0000000053F8: D3E00050 054359CC
	v_mul_f32_e32 v110, v20, v110                              // 000000005400: 0ADCDD14
	v_mul_f32_e32 v111, v20, v111                              // 000000005404: 0ADEDF14
	v_mul_f32_e32 v112, v20, v112                              // 000000005408: 0AE0E114
	v_mul_f32_e32 v113, v20, v113                              // 00000000540C: 0AE2E314
	v_mul_f32_e32 v114, v20, v114                              // 000000005410: 0AE4E514
	v_mul_f32_e32 v115, v20, v115                              // 000000005414: 0AE6E714
	v_mul_f32_e32 v116, v20, v116                              // 000000005418: 0AE8E914
	v_mfma_f32_32x32x8_bf16 v[80:95], v[206:207], v[174:175], v[80:95]// 00000000541C: D3E00050 05435DCE
	v_mul_f32_e32 v117, v20, v117                              // 000000005424: 0AEAEB14
	v_mul_f32_e32 v118, v20, v118                              // 000000005428: 0AECED14
	v_mul_f32_e32 v119, v20, v119                              // 00000000542C: 0AEEEF14
	v_mul_f32_e32 v120, v20, v120                              // 000000005430: 0AF0F114
	v_mul_f32_e32 v121, v20, v121                              // 000000005434: 0AF2F314
	v_mul_f32_e32 v122, v20, v122                              // 000000005438: 0AF4F514
	v_mul_f32_e32 v123, v20, v123                              // 00000000543C: 0AF6F714
	v_mfma_f32_32x32x8_bf16 v[80:95], v[208:209], v[176:177], v[80:95]// 000000005440: D3E00050 054361D0
	v_mul_f32_e32 v124, v20, v124                              // 000000005448: 0AF8F914
	v_mul_f32_e32 v125, v20, v125                              // 00000000544C: 0AFAFB14
	v_mul_f32_e32 v126, v20, v126                              // 000000005450: 0AFCFD14
	v_mul_f32_e32 v127, v20, v127                              // 000000005454: 0AFEFF14
	v_mul_f32_e32 v128, v20, v128                              // 000000005458: 0B010114
	v_mul_f32_e32 v129, v20, v129                              // 00000000545C: 0B030314
	v_mul_f32_e32 v130, v20, v130                              // 000000005460: 0B050514
	v_mfma_f32_32x32x8_bf16 v[80:95], v[210:211], v[178:179], v[80:95]// 000000005464: D3E00050 054365D2
	v_mul_f32_e32 v131, v20, v131                              // 00000000546C: 0B070714
	v_mul_f32_e32 v132, v20, v132                              // 000000005470: 0B090914
	v_mul_f32_e32 v133, v20, v133                              // 000000005474: 0B0B0B14
	v_mul_f32_e32 v134, v20, v134                              // 000000005478: 0B0D0D14
	v_mul_f32_e32 v135, v20, v135                              // 00000000547C: 0B0F0F14
	v_mul_f32_e32 v136, v20, v136                              // 000000005480: 0B111114
	v_mul_f32_e32 v137, v20, v137                              // 000000005484: 0B131314
	v_mfma_f32_32x32x8_bf16 v[80:95], v[212:213], v[180:181], v[80:95]// 000000005488: D3E00050 054369D4
	v_mul_f32_e32 v138, v20, v138                              // 000000005490: 0B151514
	v_mul_f32_e32 v139, v20, v139                              // 000000005494: 0B171714
	v_mul_f32_e32 v140, v20, v140                              // 000000005498: 0B191914
	v_mul_f32_e32 v141, v20, v141                              // 00000000549C: 0B1B1B14
	v_mul_f32_e32 v142, v20, v142                              // 0000000054A0: 0B1D1D14
	v_mul_f32_e32 v143, v20, v143                              // 0000000054A4: 0B1F1F14
	v_mul_f32_e32 v144, v20, v144                              // 0000000054A8: 0B212114
	v_mfma_f32_32x32x8_bf16 v[80:95], v[214:215], v[182:183], v[80:95]// 0000000054AC: D3E00050 05436DD6
	v_mul_f32_e32 v145, v20, v145                              // 0000000054B4: 0B232314
	v_mul_f32_e32 v146, v20, v146                              // 0000000054B8: 0B252514
	v_mul_f32_e32 v147, v20, v147                              // 0000000054BC: 0B272714
	v_mul_f32_e32 v148, v20, v148                              // 0000000054C0: 0B292914
	v_mul_f32_e32 v149, v20, v149                              // 0000000054C4: 0B2B2B14
	v_mul_f32_e32 v150, v20, v150                              // 0000000054C8: 0B2D2D14
	v_mul_f32_e32 v151, v20, v151                              // 0000000054CC: 0B2F2F14
	v_mfma_f32_32x32x8_bf16 v[80:95], v[216:217], v[184:185], v[80:95]// 0000000054D0: D3E00050 054371D8
	v_mul_f32_e32 v152, v20, v152                              // 0000000054D8: 0B313114
	v_mul_f32_e32 v153, v20, v153                              // 0000000054DC: 0B333314
	v_mul_f32_e32 v154, v20, v154                              // 0000000054E0: 0B353514
	v_mul_f32_e32 v155, v20, v155                              // 0000000054E4: 0B373714
	v_mul_f32_e32 v156, v20, v156                              // 0000000054E8: 0B393914
	v_mul_f32_e32 v157, v20, v157                              // 0000000054EC: 0B3B3B14
	v_mul_f32_e32 v158, v20, v158                              // 0000000054F0: 0B3D3D14
	v_mfma_f32_32x32x8_bf16 v[80:95], v[218:219], v[186:187], v[80:95]// 0000000054F4: D3E00050 054375DA
	v_mul_f32_e32 v159, v20, v159                              // 0000000054FC: 0B3F3F14
	v_perm_b32 v64, v65, v64, s49                              // 000000005500: D1ED0040 00C68141
	v_perm_b32 v65, v67, v66, s49                              // 000000005508: D1ED0041 00C68543
	v_perm_b32 v66, v69, v68, s49                              // 000000005510: D1ED0042 00C68945
	v_perm_b32 v67, v71, v70, s49                              // 000000005518: D1ED0043 00C68D47
	v_perm_b32 v68, v73, v72, s49                              // 000000005520: D1ED0044 00C69149
	v_perm_b32 v69, v75, v74, s49                              // 000000005528: D1ED0045 00C6954B
	v_mfma_f32_32x32x8_bf16 v[80:95], v[220:221], v[188:189], v[80:95]// 000000005530: D3E00050 054379DC
	v_perm_b32 v70, v77, v76, s49                              // 000000005538: D1ED0046 00C6994D
	v_perm_b32 v71, v79, v78, s49                              // 000000005540: D1ED0047 00C69D4F
	v_mfma_f32_32x32x8_bf16 v[80:95], v[222:223], v[190:191], v[80:95]// 000000005548: D3E00050 05437DDE
	s_barrier                                                  // 000000005550: BF8A0000
	s_cmp_lt_i32 s52, s51                                      // 000000005554: BF043334
	s_cbranch_scc1 label_0922                                  // 000000005558: BF85008B
	s_sub_i32 s40, s51, s52                                    // 00000000555C: 81A83433
	s_sub_i32 s41, s7, s30                                     // 000000005560: 81A91E07
	s_and_b32 s41, s41, 31                                     // 000000005564: 86299F29
	s_add_i32 s40, s40, s41                                    // 000000005568: 81282928
	v_add_i32 v16, v29, s40                                    // 00000000556C: D29C0010 0000511D
	v_cmp_lt_i32_e64 s[72:73], v16, 0                          // 000000005574: D0C10048 00010110
	v_cmp_lt_i32_e64 s[74:75], v16, 1                          // 00000000557C: D0C1004A 00010310
	v_cndmask_b32_e64 v80, v80, v31, s[72:73]                  // 000000005584: D1000050 01223F50
	v_cndmask_b32_e64 v81, v81, v31, s[74:75]                  // 00000000558C: D1000051 012A3F51
	v_cmp_lt_i32_e64 s[72:73], v16, 2                          // 000000005594: D0C10048 00010510
	v_cmp_lt_i32_e64 s[74:75], v16, 3                          // 00000000559C: D0C1004A 00010710
	v_cndmask_b32_e64 v82, v82, v31, s[72:73]                  // 0000000055A4: D1000052 01223F52
	v_cndmask_b32_e64 v83, v83, v31, s[74:75]                  // 0000000055AC: D1000053 012A3F53
	v_cmp_lt_i32_e64 s[72:73], v16, 8                          // 0000000055B4: D0C10048 00011110
	v_cmp_lt_i32_e64 s[74:75], v16, 9                          // 0000000055BC: D0C1004A 00011310
	v_cndmask_b32_e64 v84, v84, v31, s[72:73]                  // 0000000055C4: D1000054 01223F54
	v_cndmask_b32_e64 v85, v85, v31, s[74:75]                  // 0000000055CC: D1000055 012A3F55
	v_cmp_lt_i32_e64 s[72:73], v16, 10                         // 0000000055D4: D0C10048 00011510
	v_cmp_lt_i32_e64 s[74:75], v16, 11                         // 0000000055DC: D0C1004A 00011710
	v_cndmask_b32_e64 v86, v86, v31, s[72:73]                  // 0000000055E4: D1000056 01223F56
	v_cndmask_b32_e64 v87, v87, v31, s[74:75]                  // 0000000055EC: D1000057 012A3F57
	v_cmp_lt_i32_e64 s[72:73], v16, 16                         // 0000000055F4: D0C10048 00012110
	v_cmp_lt_i32_e64 s[74:75], v16, 17                         // 0000000055FC: D0C1004A 00012310
	v_cndmask_b32_e64 v88, v88, v31, s[72:73]                  // 000000005604: D1000058 01223F58
	v_cndmask_b32_e64 v89, v89, v31, s[74:75]                  // 00000000560C: D1000059 012A3F59
	v_cmp_lt_i32_e64 s[72:73], v16, 18                         // 000000005614: D0C10048 00012510
	v_cmp_lt_i32_e64 s[74:75], v16, 19                         // 00000000561C: D0C1004A 00012710
	v_cndmask_b32_e64 v90, v90, v31, s[72:73]                  // 000000005624: D100005A 01223F5A
	v_cndmask_b32_e64 v91, v91, v31, s[74:75]                  // 00000000562C: D100005B 012A3F5B
	v_cmp_lt_i32_e64 s[72:73], v16, 24                         // 000000005634: D0C10048 00013110
	v_cmp_lt_i32_e64 s[74:75], v16, 25                         // 00000000563C: D0C1004A 00013310
	v_cndmask_b32_e64 v92, v92, v31, s[72:73]                  // 000000005644: D100005C 01223F5C
	v_cndmask_b32_e64 v93, v93, v31, s[74:75]                  // 00000000564C: D100005D 012A3F5D
	v_cmp_lt_i32_e64 s[72:73], v16, 26                         // 000000005654: D0C10048 00013510
	v_cmp_lt_i32_e64 s[74:75], v16, 27                         // 00000000565C: D0C1004A 00013710
	v_cndmask_b32_e64 v94, v94, v31, s[72:73]                  // 000000005664: D100005E 01223F5E
	v_cndmask_b32_e64 v95, v95, v31, s[74:75]                  // 00000000566C: D100005F 012A3F5F
	s_cmp_lt_i32 s52, s54                                      // 000000005674: BF043634
	s_cbranch_scc1 label_0922                                  // 000000005678: BF850043
	s_sub_i32 s40, s7, s52                                     // 00000000567C: 81A83407
	v_sub_i32 v16, s40, v30                                    // 000000005680: D29D0010 00023C28
	v_cmp_lt_i32_e64 s[72:73], 0, v16                          // 000000005688: D0C10048 00022080
	v_cmp_lt_i32_e64 s[74:75], 1, v16                          // 000000005690: D0C1004A 00022081
	v_cndmask_b32_e64 v80, v31, v80, s[72:73]                  // 000000005698: D1000050 0122A11F
	v_cndmask_b32_e64 v81, v31, v81, s[74:75]                  // 0000000056A0: D1000051 012AA31F
	v_cmp_lt_i32_e64 s[72:73], 2, v16                          // 0000000056A8: D0C10048 00022082
	v_cmp_lt_i32_e64 s[74:75], 3, v16                          // 0000000056B0: D0C1004A 00022083
	v_cndmask_b32_e64 v82, v31, v82, s[72:73]                  // 0000000056B8: D1000052 0122A51F
	v_cndmask_b32_e64 v83, v31, v83, s[74:75]                  // 0000000056C0: D1000053 012AA71F
	v_cmp_lt_i32_e64 s[72:73], 8, v16                          // 0000000056C8: D0C10048 00022088
	v_cmp_lt_i32_e64 s[74:75], 9, v16                          // 0000000056D0: D0C1004A 00022089
	v_cndmask_b32_e64 v84, v31, v84, s[72:73]                  // 0000000056D8: D1000054 0122A91F
	v_cndmask_b32_e64 v85, v31, v85, s[74:75]                  // 0000000056E0: D1000055 012AAB1F
	v_cmp_lt_i32_e64 s[72:73], 10, v16                         // 0000000056E8: D0C10048 0002208A
	v_cmp_lt_i32_e64 s[74:75], 11, v16                         // 0000000056F0: D0C1004A 0002208B
	v_cndmask_b32_e64 v86, v31, v86, s[72:73]                  // 0000000056F8: D1000056 0122AD1F
	v_cndmask_b32_e64 v87, v31, v87, s[74:75]                  // 000000005700: D1000057 012AAF1F
	v_cmp_lt_i32_e64 s[72:73], 16, v16                         // 000000005708: D0C10048 00022090
	v_cmp_lt_i32_e64 s[74:75], 17, v16                         // 000000005710: D0C1004A 00022091
	v_cndmask_b32_e64 v88, v31, v88, s[72:73]                  // 000000005718: D1000058 0122B11F
	v_cndmask_b32_e64 v89, v31, v89, s[74:75]                  // 000000005720: D1000059 012AB31F
	v_cmp_lt_i32_e64 s[72:73], 18, v16                         // 000000005728: D0C10048 00022092
	v_cmp_lt_i32_e64 s[74:75], 19, v16                         // 000000005730: D0C1004A 00022093
	v_cndmask_b32_e64 v90, v31, v90, s[72:73]                  // 000000005738: D100005A 0122B51F
	v_cndmask_b32_e64 v91, v31, v91, s[74:75]                  // 000000005740: D100005B 012AB71F
	v_cmp_lt_i32_e64 s[72:73], 24, v16                         // 000000005748: D0C10048 00022098
	v_cmp_lt_i32_e64 s[74:75], 25, v16                         // 000000005750: D0C1004A 00022099
	v_cndmask_b32_e64 v92, v31, v92, s[72:73]                  // 000000005758: D100005C 0122B91F
	v_cndmask_b32_e64 v93, v31, v93, s[74:75]                  // 000000005760: D100005D 012ABB1F
	v_cmp_lt_i32_e64 s[72:73], 26, v16                         // 000000005768: D0C10048 0002209A
	v_cmp_lt_i32_e64 s[74:75], 27, v16                         // 000000005770: D0C1004A 0002209B
	v_cndmask_b32_e64 v94, v31, v94, s[72:73]                  // 000000005778: D100005E 0122BD1F
	v_cndmask_b32_e64 v95, v31, v95, s[74:75]                  // 000000005780: D100005F 012ABF1F

0000000000005788 <label_0922>:
	s_nop 0                                                    // 000000005788: BF800000
	s_nop 14                                                   // 00000000578C: BF80000E
	s_mov_b32 m0, s69                                          // 000000005790: BEFC0045
	ds_read_b64 v[192:193], v13 offset:17408                   // 000000005794: D8EC4400 C000000D
	ds_read_b64 v[194:195], v13 offset:18432                   // 00000000579C: D8EC4800 C200000D
	ds_read_b64 v[196:197], v13 offset:19456                   // 0000000057A4: D8EC4C00 C400000D
	ds_read_b64 v[198:199], v13 offset:20480                   // 0000000057AC: D8EC5000 C600000D
	ds_read_b64 v[200:201], v13 offset:17536                   // 0000000057B4: D8EC4480 C800000D
	ds_read_b64 v[202:203], v13 offset:18560                   // 0000000057BC: D8EC4880 CA00000D
	ds_read_b64 v[204:205], v13 offset:19584                   // 0000000057C4: D8EC4C80 CC00000D
	ds_read_b64 v[206:207], v13 offset:20608                   // 0000000057CC: D8EC5080 CE00000D
	s_nop 15                                                   // 0000000057D4: BF80000F
	s_nop 15                                                   // 0000000057D8: BF80000F
	buffer_load_dword v4, s[12:15], s60 offen lds              // 0000000057DC: E0511000 3C030004
	s_add_u32 m0, 0x880, m0                                    // 0000000057E4: 807C7CFF 00000880
	ds_read_b64 v[208:209], v13 offset:17664                   // 0000000057EC: D8EC4500 D000000D
	ds_read_b64 v[210:211], v13 offset:18688                   // 0000000057F4: D8EC4900 D200000D
	ds_read_b64 v[212:213], v13 offset:19712                   // 0000000057FC: D8EC4D00 D400000D
	ds_read_b64 v[214:215], v13 offset:20736                   // 000000005804: D8EC5100 D600000D
	buffer_load_dword v5, s[12:15], s60 offen lds              // 00000000580C: E0511000 3C030005
	s_add_u32 m0, 0x880, m0                                    // 000000005814: 807C7CFF 00000880
	ds_read_b64 v[216:217], v13 offset:17792                   // 00000000581C: D8EC4580 D800000D
	ds_read_b64 v[218:219], v13 offset:18816                   // 000000005824: D8EC4980 DA00000D
	ds_read_b64 v[220:221], v13 offset:19840                   // 00000000582C: D8EC4D80 DC00000D
	ds_read_b64 v[222:223], v13 offset:20864                   // 000000005834: D8EC5180 DE00000D
	buffer_load_dword v6, s[12:15], s60 offen lds              // 00000000583C: E0511000 3C030006
	s_add_u32 m0, 0x880, m0                                    // 000000005844: 807C7CFF 00000880
	buffer_load_dword v7, s[12:15], s60 offen lds              // 00000000584C: E0511000 3C030007
	s_add_u32 m0, 0x880, m0                                    // 000000005854: 807C7CFF 00000880
	s_add_i32 s60, s43, s60                                    // 00000000585C: 813C3C2B
	s_add_u32 s40, 0x80, s39                                   // 000000005860: 802827FF 00000080
	s_cmp_lt_u32 s40, s38                                      // 000000005868: BF0A2628
	s_cselect_b32 s43, s43, 0                                  // 00000000586C: 852B802B
	s_add_i32 s52, s52, s53                                    // 000000005870: 81343534
	s_addk_i32 s39, 0x20                                       // 000000005874: B7270020
	s_cmp_lt_i32 s39, s38                                      // 000000005878: BF042627
	s_waitcnt vmcnt(8) lgkmcnt(0)                              // 00000000587C: BF8C0078
	s_barrier                                                  // 000000005880: BF8A0000
	v_mfma_f32_32x32x8_bf16 v[96:111], v[192:193], v[64:65], v[96:111]// 000000005884: D3E00060 058281C0
	v_max3_f32 v25, v80, v81, v28                              // 00000000588C: D1D30019 0472A350
	v_max3_f32 v25, v82, v83, v25                              // 000000005894: D1D30019 0466A752
	v_max3_f32 v25, v84, v85, v25                              // 00000000589C: D1D30019 0466AB54
	v_max3_f32 v25, v86, v87, v25                              // 0000000058A4: D1D30019 0466AF56
	v_max3_f32 v25, v88, v89, v25                              // 0000000058AC: D1D30019 0466B358
	v_max3_f32 v25, v90, v91, v25                              // 0000000058B4: D1D30019 0466B75A
	v_max3_f32 v25, v92, v93, v25                              // 0000000058BC: D1D30019 0466BB5C
	v_mfma_f32_32x32x8_bf16 v[96:111], v[194:195], v[66:67], v[96:111]// 0000000058C4: D3E00060 058285C2
	v_max3_f32 v25, v94, v95, v25                              // 0000000058CC: D1D30019 0466BF5E
	ds_permute_b32 v24, v32, v25                               // 0000000058D4: D87C0000 18001920
	v_mfma_f32_32x32x8_bf16 v[96:111], v[196:197], v[68:69], v[96:111]// 0000000058DC: D3E00060 058289C4
	v_nop                                                      // 0000000058E4: 7E000000
	s_nop 0                                                    // 0000000058E8: BF800000
	v_mfma_f32_32x32x8_bf16 v[96:111], v[198:199], v[70:71], v[96:111]// 0000000058EC: D3E00060 05828DC6
	v_nop                                                      // 0000000058F4: 7E000000
	v_mfma_f32_32x32x8_bf16 v[112:127], v[200:201], v[64:65], v[112:127]// 0000000058F8: D3E00070 05C281C8
	s_waitcnt lgkmcnt(0)                                       // 000000005900: BF8CC07F
	v_max_f32_e32 v25, v24, v25                                // 000000005904: 16323318
	v_sub_f32_e32 v20, v28, v25                                // 000000005908: 0428331C
	v_mov_b32_e32 v28, v25                                     // 00000000590C: 7E380319
	v_mul_f32_e32 v27, s56, v25                                // 000000005910: 0A363238
	v_mul_f32_e32 v20, s56, v20                                // 000000005914: 0A282838
	v_mfma_f32_32x32x8_bf16 v[112:127], v[202:203], v[66:67], v[112:127]// 000000005918: D3E00070 05C285CA
	v_exp_f32_e32 v20, v20                                     // 000000005920: 7E284114
	v_fma_f32 v80, v80, s56, -v27                              // 000000005924: D1CB0050 846C7150
	v_fma_f32 v81, v81, s56, -v27                              // 00000000592C: D1CB0051 846C7151
	v_fma_f32 v82, v82, s56, -v27                              // 000000005934: D1CB0052 846C7152
	v_mfma_f32_32x32x8_bf16 v[112:127], v[204:205], v[68:69], v[112:127]// 00000000593C: D3E00070 05C289CC
	v_fma_f32 v83, v83, s56, -v27                              // 000000005944: D1CB0053 846C7153
	v_fma_f32 v84, v84, s56, -v27                              // 00000000594C: D1CB0054 846C7154
	v_fma_f32 v85, v85, s56, -v27                              // 000000005954: D1CB0055 846C7155
	v_fma_f32 v86, v86, s56, -v27                              // 00000000595C: D1CB0056 846C7156
	v_fma_f32 v87, v87, s56, -v27                              // 000000005964: D1CB0057 846C7157
	v_fma_f32 v88, v88, s56, -v27                              // 00000000596C: D1CB0058 846C7158
	v_fma_f32 v89, v89, s56, -v27                              // 000000005974: D1CB0059 846C7159
	v_mfma_f32_32x32x8_bf16 v[112:127], v[206:207], v[70:71], v[112:127]// 00000000597C: D3E00070 05C28DCE
	v_fma_f32 v90, v90, s56, -v27                              // 000000005984: D1CB005A 846C715A
	v_fma_f32 v91, v91, s56, -v27                              // 00000000598C: D1CB005B 846C715B
	v_fma_f32 v92, v92, s56, -v27                              // 000000005994: D1CB005C 846C715C
	v_fma_f32 v93, v93, s56, -v27                              // 00000000599C: D1CB005D 846C715D
	v_fma_f32 v94, v94, s56, -v27                              // 0000000059A4: D1CB005E 846C715E
	v_fma_f32 v95, v95, s56, -v27                              // 0000000059AC: D1CB005F 846C715F
	v_exp_f32_e32 v80, v80                                     // 0000000059B4: 7EA04150
	v_mfma_f32_32x32x8_bf16 v[128:143], v[208:209], v[64:65], v[128:143]// 0000000059B8: D3E00080 060281D0
	v_exp_f32_e32 v81, v81                                     // 0000000059C0: 7EA24151
	v_exp_f32_e32 v82, v82                                     // 0000000059C4: 7EA44152
	v_mfma_f32_32x32x8_bf16 v[128:143], v[210:211], v[66:67], v[128:143]// 0000000059C8: D3E00080 060285D2
	v_exp_f32_e32 v83, v83                                     // 0000000059D0: 7EA64153
	v_exp_f32_e32 v84, v84                                     // 0000000059D4: 7EA84154
	v_mfma_f32_32x32x8_bf16 v[128:143], v[212:213], v[68:69], v[128:143]// 0000000059D8: D3E00080 060289D4
	v_exp_f32_e32 v85, v85                                     // 0000000059E0: 7EAA4155
	v_exp_f32_e32 v86, v86                                     // 0000000059E4: 7EAC4156
	v_mfma_f32_32x32x8_bf16 v[128:143], v[214:215], v[70:71], v[128:143]// 0000000059E8: D3E00080 06028DD6
	v_exp_f32_e32 v87, v87                                     // 0000000059F0: 7EAE4157
	v_exp_f32_e32 v88, v88                                     // 0000000059F4: 7EB04158
	v_mfma_f32_32x32x8_bf16 v[144:159], v[216:217], v[64:65], v[144:159]// 0000000059F8: D3E00090 064281D8
	v_exp_f32_e32 v89, v89                                     // 000000005A00: 7EB24159
	v_exp_f32_e32 v90, v90                                     // 000000005A04: 7EB4415A
	v_mfma_f32_32x32x8_bf16 v[144:159], v[218:219], v[66:67], v[144:159]// 000000005A08: D3E00090 064285DA
	v_exp_f32_e32 v91, v91                                     // 000000005A10: 7EB6415B
	v_exp_f32_e32 v92, v92                                     // 000000005A14: 7EB8415C
	v_mfma_f32_32x32x8_bf16 v[144:159], v[220:221], v[68:69], v[144:159]// 000000005A18: D3E00090 064289DC
	v_exp_f32_e32 v93, v93                                     // 000000005A20: 7EBA415D
	v_exp_f32_e32 v94, v94                                     // 000000005A24: 7EBC415E
	v_mfma_f32_32x32x8_bf16 v[144:159], v[222:223], v[70:71], v[144:159]// 000000005A28: D3E00090 06428DDE
	v_nop                                                      // 000000005A30: 7E000000
	s_cbranch_scc0 label_0BBA                                  // 000000005A34: BF8401EC
	buffer_load_dword v224, v8, s[16:19], s35 offen            // 000000005A38: E0501000 2304E008
	ds_read_b128 v[192:195], v12                               // 000000005A40: D9FE0000 C000000C
	ds_read_b128 v[196:199], v12 offset:32                     // 000000005A48: D9FE0020 C400000C
	buffer_load_dword v225, v9, s[16:19], s35 offen            // 000000005A50: E0501000 2304E109
	ds_read_b128 v[200:203], v12 offset:64                     // 000000005A58: D9FE0040 C800000C
	ds_read_b128 v[204:207], v12 offset:96                     // 000000005A60: D9FE0060 CC00000C
	buffer_load_dword v226, v10, s[16:19], s35 offen           // 000000005A68: E0501000 2304E20A
	ds_read_b128 v[208:211], v12 offset:128                    // 000000005A70: D9FE0080 D000000C
	ds_read_b128 v[212:215], v12 offset:160                    // 000000005A78: D9FE00A0 D400000C
	buffer_load_dword v227, v11, s[16:19], s35 offen           // 000000005A80: E0501000 2304E30B
	ds_read_b128 v[216:219], v12 offset:192                    // 000000005A88: D9FE00C0 D800000C
	ds_read_b128 v[220:223], v12 offset:224                    // 000000005A90: D9FE00E0 DC00000C
	s_add_i32 s35, s44, s35                                    // 000000005A98: 8123232C
	s_add_u32 s40, 64, s39                                     // 000000005A9C: 802827C0
	s_nop 0                                                    // 000000005AA0: BF800000
	s_cmp_lt_u32 s40, s38                                      // 000000005AA4: BF0A2628
	s_cselect_b32 s44, s44, 0                                  // 000000005AA8: 852C802C
	s_waitcnt vmcnt(8) lgkmcnt(0)                              // 000000005AAC: BF8C0078
	s_barrier                                                  // 000000005AB0: BF8A0000
	v_perm_b32 v232, v229, v228, s50                           // 000000005AB4: D1ED00E8 00CBC9E5
	v_perm_b32 v234, v229, v228, s49                           // 000000005ABC: D1ED00EA 00C7C9E5
	v_perm_b32 v233, v231, v230, s50                           // 000000005AC4: D1ED00E9 00CBCDE7
	v_perm_b32 v235, v231, v230, s49                           // 000000005ACC: D1ED00EB 00C7CDE7
	ds_write_b64 v14, v[232:233] offset:17408                  // 000000005AD4: D89A4400 0000E80E
	ds_write_b64 v14, v[234:235] offset:21568                  // 000000005ADC: D89A5440 0000EA0E
	s_nop 0                                                    // 000000005AE4: BF800000
	s_barrier                                                  // 000000005AE8: BF8A0000
	v_mfma_f32_32x32x8_bf16 v[64:79], v[192:193], v[160:161], 0// 000000005AEC: D3E00040 020341C0
	v_exp_f32_e32 v95, v95                                     // 000000005AF4: 7EBE415F
	v_mul_f32_e32 v22, v20, v22                                // 000000005AF8: 0A2C2D14
	v_add_f32_e32 v38, v81, v80                                // 000000005AFC: 024CA151
	v_add_f32_e32 v38, v82, v38                                // 000000005B00: 024C4D52
	v_mfma_f32_32x32x8_bf16 v[64:79], v[194:195], v[162:163], v[64:79]// 000000005B04: D3E00040 050345C2
	v_add_f32_e32 v38, v83, v38                                // 000000005B0C: 024C4D53
	v_add_f32_e32 v38, v84, v38                                // 000000005B10: 024C4D54
	v_add_f32_e32 v38, v85, v38                                // 000000005B14: 024C4D55
	v_add_f32_e32 v38, v86, v38                                // 000000005B18: 024C4D56
	v_add_f32_e32 v38, v87, v38                                // 000000005B1C: 024C4D57
	v_add_f32_e32 v38, v88, v38                                // 000000005B20: 024C4D58
	v_add_f32_e32 v38, v89, v38                                // 000000005B24: 024C4D59
	v_mfma_f32_32x32x8_bf16 v[64:79], v[196:197], v[164:165], v[64:79]// 000000005B28: D3E00040 050349C4
	v_add_f32_e32 v38, v90, v38                                // 000000005B30: 024C4D5A
	v_add_f32_e32 v38, v91, v38                                // 000000005B34: 024C4D5B
	v_add_f32_e32 v38, v92, v38                                // 000000005B38: 024C4D5C
	v_add_f32_e32 v38, v93, v38                                // 000000005B3C: 024C4D5D
	v_add_f32_e32 v38, v94, v38                                // 000000005B40: 024C4D5E
	v_add_f32_e32 v38, v95, v38                                // 000000005B44: 024C4D5F
	v_add_f32_e32 v22, v38, v22                                // 000000005B48: 022C2D26
	v_mfma_f32_32x32x8_bf16 v[64:79], v[198:199], v[166:167], v[64:79]// 000000005B4C: D3E00040 05034DC6
	s_waitcnt lgkmcnt(0)                                       // 000000005B54: BF8CC07F
	s_barrier                                                  // 000000005B58: BF8A0000
	v_mfma_f32_32x32x8_bf16 v[64:79], v[200:201], v[168:169], v[64:79]// 000000005B5C: D3E00040 050351C8
	v_mul_f32_e32 v96, v20, v96                                // 000000005B64: 0AC0C114
	v_mul_f32_e32 v97, v20, v97                                // 000000005B68: 0AC2C314
	v_mul_f32_e32 v98, v20, v98                                // 000000005B6C: 0AC4C514
	v_mul_f32_e32 v99, v20, v99                                // 000000005B70: 0AC6C714
	v_mul_f32_e32 v100, v20, v100                              // 000000005B74: 0AC8C914
	v_mul_f32_e32 v101, v20, v101                              // 000000005B78: 0ACACB14
	v_mul_f32_e32 v102, v20, v102                              // 000000005B7C: 0ACCCD14
	v_mfma_f32_32x32x8_bf16 v[64:79], v[202:203], v[170:171], v[64:79]// 000000005B80: D3E00040 050355CA
	v_mul_f32_e32 v103, v20, v103                              // 000000005B88: 0ACECF14
	v_mul_f32_e32 v104, v20, v104                              // 000000005B8C: 0AD0D114
	v_mul_f32_e32 v105, v20, v105                              // 000000005B90: 0AD2D314
	v_mul_f32_e32 v106, v20, v106                              // 000000005B94: 0AD4D514
	v_mul_f32_e32 v107, v20, v107                              // 000000005B98: 0AD6D714
	v_mul_f32_e32 v108, v20, v108                              // 000000005B9C: 0AD8D914
	v_mul_f32_e32 v109, v20, v109                              // 000000005BA0: 0ADADB14
	v_mfma_f32_32x32x8_bf16 v[64:79], v[204:205], v[172:173], v[64:79]// 000000005BA4: D3E00040 050359CC
	v_mul_f32_e32 v110, v20, v110                              // 000000005BAC: 0ADCDD14
	v_mul_f32_e32 v111, v20, v111                              // 000000005BB0: 0ADEDF14
	v_mul_f32_e32 v112, v20, v112                              // 000000005BB4: 0AE0E114
	v_mul_f32_e32 v113, v20, v113                              // 000000005BB8: 0AE2E314
	v_mul_f32_e32 v114, v20, v114                              // 000000005BBC: 0AE4E514
	v_mul_f32_e32 v115, v20, v115                              // 000000005BC0: 0AE6E714
	v_mul_f32_e32 v116, v20, v116                              // 000000005BC4: 0AE8E914
	v_mfma_f32_32x32x8_bf16 v[64:79], v[206:207], v[174:175], v[64:79]// 000000005BC8: D3E00040 05035DCE
	v_mul_f32_e32 v117, v20, v117                              // 000000005BD0: 0AEAEB14
	v_mul_f32_e32 v118, v20, v118                              // 000000005BD4: 0AECED14
	v_mul_f32_e32 v119, v20, v119                              // 000000005BD8: 0AEEEF14
	v_mul_f32_e32 v120, v20, v120                              // 000000005BDC: 0AF0F114
	v_mul_f32_e32 v121, v20, v121                              // 000000005BE0: 0AF2F314
	v_mul_f32_e32 v122, v20, v122                              // 000000005BE4: 0AF4F514
	v_mul_f32_e32 v123, v20, v123                              // 000000005BE8: 0AF6F714
	v_mfma_f32_32x32x8_bf16 v[64:79], v[208:209], v[176:177], v[64:79]// 000000005BEC: D3E00040 050361D0
	v_mul_f32_e32 v124, v20, v124                              // 000000005BF4: 0AF8F914
	v_mul_f32_e32 v125, v20, v125                              // 000000005BF8: 0AFAFB14
	v_mul_f32_e32 v126, v20, v126                              // 000000005BFC: 0AFCFD14
	v_mul_f32_e32 v127, v20, v127                              // 000000005C00: 0AFEFF14
	v_mul_f32_e32 v128, v20, v128                              // 000000005C04: 0B010114
	v_mul_f32_e32 v129, v20, v129                              // 000000005C08: 0B030314
	v_mul_f32_e32 v130, v20, v130                              // 000000005C0C: 0B050514
	v_mfma_f32_32x32x8_bf16 v[64:79], v[210:211], v[178:179], v[64:79]// 000000005C10: D3E00040 050365D2
	v_mul_f32_e32 v131, v20, v131                              // 000000005C18: 0B070714
	v_mul_f32_e32 v132, v20, v132                              // 000000005C1C: 0B090914
	v_mul_f32_e32 v133, v20, v133                              // 000000005C20: 0B0B0B14
	v_mul_f32_e32 v134, v20, v134                              // 000000005C24: 0B0D0D14
	v_mul_f32_e32 v135, v20, v135                              // 000000005C28: 0B0F0F14
	v_mul_f32_e32 v136, v20, v136                              // 000000005C2C: 0B111114
	v_mul_f32_e32 v137, v20, v137                              // 000000005C30: 0B131314
	v_mfma_f32_32x32x8_bf16 v[64:79], v[212:213], v[180:181], v[64:79]// 000000005C34: D3E00040 050369D4
	v_mul_f32_e32 v138, v20, v138                              // 000000005C3C: 0B151514
	v_mul_f32_e32 v139, v20, v139                              // 000000005C40: 0B171714
	v_mul_f32_e32 v140, v20, v140                              // 000000005C44: 0B191914
	v_mul_f32_e32 v141, v20, v141                              // 000000005C48: 0B1B1B14
	v_mul_f32_e32 v142, v20, v142                              // 000000005C4C: 0B1D1D14
	v_mul_f32_e32 v143, v20, v143                              // 000000005C50: 0B1F1F14
	v_mul_f32_e32 v144, v20, v144                              // 000000005C54: 0B212114
	v_mfma_f32_32x32x8_bf16 v[64:79], v[214:215], v[182:183], v[64:79]// 000000005C58: D3E00040 05036DD6
	v_mul_f32_e32 v145, v20, v145                              // 000000005C60: 0B232314
	v_mul_f32_e32 v146, v20, v146                              // 000000005C64: 0B252514
	v_mul_f32_e32 v147, v20, v147                              // 000000005C68: 0B272714
	v_mul_f32_e32 v148, v20, v148                              // 000000005C6C: 0B292914
	v_mul_f32_e32 v149, v20, v149                              // 000000005C70: 0B2B2B14
	v_mul_f32_e32 v150, v20, v150                              // 000000005C74: 0B2D2D14
	v_mul_f32_e32 v151, v20, v151                              // 000000005C78: 0B2F2F14
	v_mfma_f32_32x32x8_bf16 v[64:79], v[216:217], v[184:185], v[64:79]// 000000005C7C: D3E00040 050371D8
	v_mul_f32_e32 v152, v20, v152                              // 000000005C84: 0B313114
	v_mul_f32_e32 v153, v20, v153                              // 000000005C88: 0B333314
	v_mul_f32_e32 v154, v20, v154                              // 000000005C8C: 0B353514
	v_mul_f32_e32 v155, v20, v155                              // 000000005C90: 0B373714
	v_mul_f32_e32 v156, v20, v156                              // 000000005C94: 0B393914
	v_mul_f32_e32 v157, v20, v157                              // 000000005C98: 0B3B3B14
	v_mul_f32_e32 v158, v20, v158                              // 000000005C9C: 0B3D3D14
	v_mfma_f32_32x32x8_bf16 v[64:79], v[218:219], v[186:187], v[64:79]// 000000005CA0: D3E00040 050375DA
	v_mul_f32_e32 v159, v20, v159                              // 000000005CA8: 0B3F3F14
	v_perm_b32 v80, v81, v80, s49                              // 000000005CAC: D1ED0050 00C6A151
	v_perm_b32 v81, v83, v82, s49                              // 000000005CB4: D1ED0051 00C6A553
	v_perm_b32 v82, v85, v84, s49                              // 000000005CBC: D1ED0052 00C6A955
	v_perm_b32 v83, v87, v86, s49                              // 000000005CC4: D1ED0053 00C6AD57
	v_perm_b32 v84, v89, v88, s49                              // 000000005CCC: D1ED0054 00C6B159
	v_perm_b32 v85, v91, v90, s49                              // 000000005CD4: D1ED0055 00C6B55B
	v_mfma_f32_32x32x8_bf16 v[64:79], v[220:221], v[188:189], v[64:79]// 000000005CDC: D3E00040 050379DC
	v_perm_b32 v86, v93, v92, s49                              // 000000005CE4: D1ED0056 00C6B95D
	v_perm_b32 v87, v95, v94, s49                              // 000000005CEC: D1ED0057 00C6BD5F
	v_mfma_f32_32x32x8_bf16 v[64:79], v[222:223], v[190:191], v[64:79]// 000000005CF4: D3E00040 05037DDE
	s_barrier                                                  // 000000005CFC: BF8A0000
	s_cmp_lt_i32 s52, s51                                      // 000000005D00: BF043334
	s_cbranch_scc1 label_0B0D                                  // 000000005D04: BF85008B
	s_sub_i32 s40, s51, s52                                    // 000000005D08: 81A83433
	s_sub_i32 s41, s7, s30                                     // 000000005D0C: 81A91E07
	s_and_b32 s41, s41, 31                                     // 000000005D10: 86299F29
	s_add_i32 s40, s40, s41                                    // 000000005D14: 81282928
	v_add_i32 v16, v29, s40                                    // 000000005D18: D29C0010 0000511D
	v_cmp_lt_i32_e64 s[72:73], v16, 0                          // 000000005D20: D0C10048 00010110
	v_cmp_lt_i32_e64 s[74:75], v16, 1                          // 000000005D28: D0C1004A 00010310
	v_cndmask_b32_e64 v64, v64, v31, s[72:73]                  // 000000005D30: D1000040 01223F40
	v_cndmask_b32_e64 v65, v65, v31, s[74:75]                  // 000000005D38: D1000041 012A3F41
	v_cmp_lt_i32_e64 s[72:73], v16, 2                          // 000000005D40: D0C10048 00010510
	v_cmp_lt_i32_e64 s[74:75], v16, 3                          // 000000005D48: D0C1004A 00010710
	v_cndmask_b32_e64 v66, v66, v31, s[72:73]                  // 000000005D50: D1000042 01223F42
	v_cndmask_b32_e64 v67, v67, v31, s[74:75]                  // 000000005D58: D1000043 012A3F43
	v_cmp_lt_i32_e64 s[72:73], v16, 8                          // 000000005D60: D0C10048 00011110
	v_cmp_lt_i32_e64 s[74:75], v16, 9                          // 000000005D68: D0C1004A 00011310
	v_cndmask_b32_e64 v68, v68, v31, s[72:73]                  // 000000005D70: D1000044 01223F44
	v_cndmask_b32_e64 v69, v69, v31, s[74:75]                  // 000000005D78: D1000045 012A3F45
	v_cmp_lt_i32_e64 s[72:73], v16, 10                         // 000000005D80: D0C10048 00011510
	v_cmp_lt_i32_e64 s[74:75], v16, 11                         // 000000005D88: D0C1004A 00011710
	v_cndmask_b32_e64 v70, v70, v31, s[72:73]                  // 000000005D90: D1000046 01223F46
	v_cndmask_b32_e64 v71, v71, v31, s[74:75]                  // 000000005D98: D1000047 012A3F47
	v_cmp_lt_i32_e64 s[72:73], v16, 16                         // 000000005DA0: D0C10048 00012110
	v_cmp_lt_i32_e64 s[74:75], v16, 17                         // 000000005DA8: D0C1004A 00012310
	v_cndmask_b32_e64 v72, v72, v31, s[72:73]                  // 000000005DB0: D1000048 01223F48
	v_cndmask_b32_e64 v73, v73, v31, s[74:75]                  // 000000005DB8: D1000049 012A3F49
	v_cmp_lt_i32_e64 s[72:73], v16, 18                         // 000000005DC0: D0C10048 00012510
	v_cmp_lt_i32_e64 s[74:75], v16, 19                         // 000000005DC8: D0C1004A 00012710
	v_cndmask_b32_e64 v74, v74, v31, s[72:73]                  // 000000005DD0: D100004A 01223F4A
	v_cndmask_b32_e64 v75, v75, v31, s[74:75]                  // 000000005DD8: D100004B 012A3F4B
	v_cmp_lt_i32_e64 s[72:73], v16, 24                         // 000000005DE0: D0C10048 00013110
	v_cmp_lt_i32_e64 s[74:75], v16, 25                         // 000000005DE8: D0C1004A 00013310
	v_cndmask_b32_e64 v76, v76, v31, s[72:73]                  // 000000005DF0: D100004C 01223F4C
	v_cndmask_b32_e64 v77, v77, v31, s[74:75]                  // 000000005DF8: D100004D 012A3F4D
	v_cmp_lt_i32_e64 s[72:73], v16, 26                         // 000000005E00: D0C10048 00013510
	v_cmp_lt_i32_e64 s[74:75], v16, 27                         // 000000005E08: D0C1004A 00013710
	v_cndmask_b32_e64 v78, v78, v31, s[72:73]                  // 000000005E10: D100004E 01223F4E
	v_cndmask_b32_e64 v79, v79, v31, s[74:75]                  // 000000005E18: D100004F 012A3F4F
	s_cmp_lt_i32 s52, s54                                      // 000000005E20: BF043634
	s_cbranch_scc1 label_0B0D                                  // 000000005E24: BF850043
	s_sub_i32 s40, s7, s52                                     // 000000005E28: 81A83407
	v_sub_i32 v16, s40, v30                                    // 000000005E2C: D29D0010 00023C28
	v_cmp_lt_i32_e64 s[72:73], 0, v16                          // 000000005E34: D0C10048 00022080
	v_cmp_lt_i32_e64 s[74:75], 1, v16                          // 000000005E3C: D0C1004A 00022081
	v_cndmask_b32_e64 v64, v31, v64, s[72:73]                  // 000000005E44: D1000040 0122811F
	v_cndmask_b32_e64 v65, v31, v65, s[74:75]                  // 000000005E4C: D1000041 012A831F
	v_cmp_lt_i32_e64 s[72:73], 2, v16                          // 000000005E54: D0C10048 00022082
	v_cmp_lt_i32_e64 s[74:75], 3, v16                          // 000000005E5C: D0C1004A 00022083
	v_cndmask_b32_e64 v66, v31, v66, s[72:73]                  // 000000005E64: D1000042 0122851F
	v_cndmask_b32_e64 v67, v31, v67, s[74:75]                  // 000000005E6C: D1000043 012A871F
	v_cmp_lt_i32_e64 s[72:73], 8, v16                          // 000000005E74: D0C10048 00022088
	v_cmp_lt_i32_e64 s[74:75], 9, v16                          // 000000005E7C: D0C1004A 00022089
	v_cndmask_b32_e64 v68, v31, v68, s[72:73]                  // 000000005E84: D1000044 0122891F
	v_cndmask_b32_e64 v69, v31, v69, s[74:75]                  // 000000005E8C: D1000045 012A8B1F
	v_cmp_lt_i32_e64 s[72:73], 10, v16                         // 000000005E94: D0C10048 0002208A
	v_cmp_lt_i32_e64 s[74:75], 11, v16                         // 000000005E9C: D0C1004A 0002208B
	v_cndmask_b32_e64 v70, v31, v70, s[72:73]                  // 000000005EA4: D1000046 01228D1F
	v_cndmask_b32_e64 v71, v31, v71, s[74:75]                  // 000000005EAC: D1000047 012A8F1F
	v_cmp_lt_i32_e64 s[72:73], 16, v16                         // 000000005EB4: D0C10048 00022090
	v_cmp_lt_i32_e64 s[74:75], 17, v16                         // 000000005EBC: D0C1004A 00022091
	v_cndmask_b32_e64 v72, v31, v72, s[72:73]                  // 000000005EC4: D1000048 0122911F
	v_cndmask_b32_e64 v73, v31, v73, s[74:75]                  // 000000005ECC: D1000049 012A931F
	v_cmp_lt_i32_e64 s[72:73], 18, v16                         // 000000005ED4: D0C10048 00022092
	v_cmp_lt_i32_e64 s[74:75], 19, v16                         // 000000005EDC: D0C1004A 00022093
	v_cndmask_b32_e64 v74, v31, v74, s[72:73]                  // 000000005EE4: D100004A 0122951F
	v_cndmask_b32_e64 v75, v31, v75, s[74:75]                  // 000000005EEC: D100004B 012A971F
	v_cmp_lt_i32_e64 s[72:73], 24, v16                         // 000000005EF4: D0C10048 00022098
	v_cmp_lt_i32_e64 s[74:75], 25, v16                         // 000000005EFC: D0C1004A 00022099
	v_cndmask_b32_e64 v76, v31, v76, s[72:73]                  // 000000005F04: D100004C 0122991F
	v_cndmask_b32_e64 v77, v31, v77, s[74:75]                  // 000000005F0C: D100004D 012A9B1F
	v_cmp_lt_i32_e64 s[72:73], 26, v16                         // 000000005F14: D0C10048 0002209A
	v_cmp_lt_i32_e64 s[74:75], 27, v16                         // 000000005F1C: D0C1004A 0002209B
	v_cndmask_b32_e64 v78, v31, v78, s[72:73]                  // 000000005F24: D100004E 01229D1F
	v_cndmask_b32_e64 v79, v31, v79, s[74:75]                  // 000000005F2C: D100004F 012A9F1F

0000000000005f34 <label_0B0D>:
	s_nop 0                                                    // 000000005F34: BF800000
	s_nop 14                                                   // 000000005F38: BF80000E
	s_mov_b32 m0, s68                                          // 000000005F3C: BEFC0044
	ds_read_b64 v[192:193], v13 offset:17408                   // 000000005F40: D8EC4400 C000000D
	ds_read_b64 v[194:195], v13 offset:18432                   // 000000005F48: D8EC4800 C200000D
	ds_read_b64 v[196:197], v13 offset:19456                   // 000000005F50: D8EC4C00 C400000D
	ds_read_b64 v[198:199], v13 offset:20480                   // 000000005F58: D8EC5000 C600000D
	ds_read_b64 v[200:201], v13 offset:17536                   // 000000005F60: D8EC4480 C800000D
	ds_read_b64 v[202:203], v13 offset:18560                   // 000000005F68: D8EC4880 CA00000D
	ds_read_b64 v[204:205], v13 offset:19584                   // 000000005F70: D8EC4C80 CC00000D
	ds_read_b64 v[206:207], v13 offset:20608                   // 000000005F78: D8EC5080 CE00000D
	s_nop 15                                                   // 000000005F80: BF80000F
	s_nop 15                                                   // 000000005F84: BF80000F
	buffer_load_dword v4, s[12:15], s60 offen lds              // 000000005F88: E0511000 3C030004
	s_add_u32 m0, 0x880, m0                                    // 000000005F90: 807C7CFF 00000880
	ds_read_b64 v[208:209], v13 offset:17664                   // 000000005F98: D8EC4500 D000000D
	ds_read_b64 v[210:211], v13 offset:18688                   // 000000005FA0: D8EC4900 D200000D
	ds_read_b64 v[212:213], v13 offset:19712                   // 000000005FA8: D8EC4D00 D400000D
	ds_read_b64 v[214:215], v13 offset:20736                   // 000000005FB0: D8EC5100 D600000D
	buffer_load_dword v5, s[12:15], s60 offen lds              // 000000005FB8: E0511000 3C030005
	s_add_u32 m0, 0x880, m0                                    // 000000005FC0: 807C7CFF 00000880
	ds_read_b64 v[216:217], v13 offset:17792                   // 000000005FC8: D8EC4580 D800000D
	ds_read_b64 v[218:219], v13 offset:18816                   // 000000005FD0: D8EC4980 DA00000D
	ds_read_b64 v[220:221], v13 offset:19840                   // 000000005FD8: D8EC4D80 DC00000D
	ds_read_b64 v[222:223], v13 offset:20864                   // 000000005FE0: D8EC5180 DE00000D
	buffer_load_dword v6, s[12:15], s60 offen lds              // 000000005FE8: E0511000 3C030006
	s_add_u32 m0, 0x880, m0                                    // 000000005FF0: 807C7CFF 00000880
	buffer_load_dword v7, s[12:15], s60 offen lds              // 000000005FF8: E0511000 3C030007
	s_add_u32 m0, 0x880, m0                                    // 000000006000: 807C7CFF 00000880
	s_add_i32 s60, s43, s60                                    // 000000006008: 813C3C2B
	s_add_u32 s40, 0x80, s39                                   // 00000000600C: 802827FF 00000080
	s_cmp_lt_u32 s40, s38                                      // 000000006014: BF0A2628
	s_cselect_b32 s43, s43, 0                                  // 000000006018: 852B802B
	s_add_i32 s52, s52, s53                                    // 00000000601C: 81343534
	s_addk_i32 s39, 0x20                                       // 000000006020: B7270020
	s_cmp_lt_i32 s39, s38                                      // 000000006024: BF042627
	s_waitcnt vmcnt(8) lgkmcnt(0)                              // 000000006028: BF8C0078
	s_barrier                                                  // 00000000602C: BF8A0000
	v_mfma_f32_32x32x8_bf16 v[96:111], v[192:193], v[80:81], v[96:111]// 000000006030: D3E00060 0582A1C0
	v_max3_f32 v25, v64, v65, v28                              // 000000006038: D1D30019 04728340
	v_max3_f32 v25, v66, v67, v25                              // 000000006040: D1D30019 04668742
	v_max3_f32 v25, v68, v69, v25                              // 000000006048: D1D30019 04668B44
	v_max3_f32 v25, v70, v71, v25                              // 000000006050: D1D30019 04668F46
	v_max3_f32 v25, v72, v73, v25                              // 000000006058: D1D30019 04669348
	v_max3_f32 v25, v74, v75, v25                              // 000000006060: D1D30019 0466974A
	v_max3_f32 v25, v76, v77, v25                              // 000000006068: D1D30019 04669B4C
	v_mfma_f32_32x32x8_bf16 v[96:111], v[194:195], v[82:83], v[96:111]// 000000006070: D3E00060 0582A5C2
	v_max3_f32 v25, v78, v79, v25                              // 000000006078: D1D30019 04669F4E
	ds_permute_b32 v24, v32, v25                               // 000000006080: D87C0000 18001920
	v_mfma_f32_32x32x8_bf16 v[96:111], v[196:197], v[84:85], v[96:111]// 000000006088: D3E00060 0582A9C4
	v_nop                                                      // 000000006090: 7E000000
	s_nop 0                                                    // 000000006094: BF800000
	v_mfma_f32_32x32x8_bf16 v[96:111], v[198:199], v[86:87], v[96:111]// 000000006098: D3E00060 0582ADC6
	v_nop                                                      // 0000000060A0: 7E000000
	v_mfma_f32_32x32x8_bf16 v[112:127], v[200:201], v[80:81], v[112:127]// 0000000060A4: D3E00070 05C2A1C8
	s_waitcnt lgkmcnt(0)                                       // 0000000060AC: BF8CC07F
	v_max_f32_e32 v25, v24, v25                                // 0000000060B0: 16323318
	v_sub_f32_e32 v20, v28, v25                                // 0000000060B4: 0428331C
	v_mov_b32_e32 v28, v25                                     // 0000000060B8: 7E380319
	v_mul_f32_e32 v27, s56, v25                                // 0000000060BC: 0A363238
	v_mul_f32_e32 v20, s56, v20                                // 0000000060C0: 0A282838
	v_mfma_f32_32x32x8_bf16 v[112:127], v[202:203], v[82:83], v[112:127]// 0000000060C4: D3E00070 05C2A5CA
	v_exp_f32_e32 v20, v20                                     // 0000000060CC: 7E284114
	v_fma_f32 v64, v64, s56, -v27                              // 0000000060D0: D1CB0040 846C7140
	v_fma_f32 v65, v65, s56, -v27                              // 0000000060D8: D1CB0041 846C7141
	v_fma_f32 v66, v66, s56, -v27                              // 0000000060E0: D1CB0042 846C7142
	v_mfma_f32_32x32x8_bf16 v[112:127], v[204:205], v[84:85], v[112:127]// 0000000060E8: D3E00070 05C2A9CC
	v_fma_f32 v67, v67, s56, -v27                              // 0000000060F0: D1CB0043 846C7143
	v_fma_f32 v68, v68, s56, -v27                              // 0000000060F8: D1CB0044 846C7144
	v_fma_f32 v69, v69, s56, -v27                              // 000000006100: D1CB0045 846C7145
	v_fma_f32 v70, v70, s56, -v27                              // 000000006108: D1CB0046 846C7146
	v_fma_f32 v71, v71, s56, -v27                              // 000000006110: D1CB0047 846C7147
	v_fma_f32 v72, v72, s56, -v27                              // 000000006118: D1CB0048 846C7148
	v_fma_f32 v73, v73, s56, -v27                              // 000000006120: D1CB0049 846C7149
	v_mfma_f32_32x32x8_bf16 v[112:127], v[206:207], v[86:87], v[112:127]// 000000006128: D3E00070 05C2ADCE
	v_fma_f32 v74, v74, s56, -v27                              // 000000006130: D1CB004A 846C714A
	v_fma_f32 v75, v75, s56, -v27                              // 000000006138: D1CB004B 846C714B
	v_fma_f32 v76, v76, s56, -v27                              // 000000006140: D1CB004C 846C714C
	v_fma_f32 v77, v77, s56, -v27                              // 000000006148: D1CB004D 846C714D
	v_fma_f32 v78, v78, s56, -v27                              // 000000006150: D1CB004E 846C714E
	v_fma_f32 v79, v79, s56, -v27                              // 000000006158: D1CB004F 846C714F
	v_exp_f32_e32 v64, v64                                     // 000000006160: 7E804140
	v_mfma_f32_32x32x8_bf16 v[128:143], v[208:209], v[80:81], v[128:143]// 000000006164: D3E00080 0602A1D0
	v_exp_f32_e32 v65, v65                                     // 00000000616C: 7E824141
	v_exp_f32_e32 v66, v66                                     // 000000006170: 7E844142
	v_mfma_f32_32x32x8_bf16 v[128:143], v[210:211], v[82:83], v[128:143]// 000000006174: D3E00080 0602A5D2
	v_exp_f32_e32 v67, v67                                     // 00000000617C: 7E864143
	v_exp_f32_e32 v68, v68                                     // 000000006180: 7E884144
	v_mfma_f32_32x32x8_bf16 v[128:143], v[212:213], v[84:85], v[128:143]// 000000006184: D3E00080 0602A9D4
	v_exp_f32_e32 v69, v69                                     // 00000000618C: 7E8A4145
	v_exp_f32_e32 v70, v70                                     // 000000006190: 7E8C4146
	v_mfma_f32_32x32x8_bf16 v[128:143], v[214:215], v[86:87], v[128:143]// 000000006194: D3E00080 0602ADD6
	v_exp_f32_e32 v71, v71                                     // 00000000619C: 7E8E4147
	v_exp_f32_e32 v72, v72                                     // 0000000061A0: 7E904148
	v_mfma_f32_32x32x8_bf16 v[144:159], v[216:217], v[80:81], v[144:159]// 0000000061A4: D3E00090 0642A1D8
	v_exp_f32_e32 v73, v73                                     // 0000000061AC: 7E924149
	v_exp_f32_e32 v74, v74                                     // 0000000061B0: 7E94414A
	v_mfma_f32_32x32x8_bf16 v[144:159], v[218:219], v[82:83], v[144:159]// 0000000061B4: D3E00090 0642A5DA
	v_exp_f32_e32 v75, v75                                     // 0000000061BC: 7E96414B
	v_exp_f32_e32 v76, v76                                     // 0000000061C0: 7E98414C
	v_mfma_f32_32x32x8_bf16 v[144:159], v[220:221], v[84:85], v[144:159]// 0000000061C4: D3E00090 0642A9DC
	v_exp_f32_e32 v77, v77                                     // 0000000061CC: 7E9A414D
	v_exp_f32_e32 v78, v78                                     // 0000000061D0: 7E9C414E
	v_mfma_f32_32x32x8_bf16 v[144:159], v[222:223], v[86:87], v[144:159]// 0000000061D4: D3E00090 0642ADDE
	v_nop                                                      // 0000000061DC: 7E000000
	s_cbranch_scc0 label_0BBA                                  // 0000000061E0: BF840001
	s_branch label_07E3                                        // 0000000061E4: BF82FC29

00000000000061e8 <label_0BBA>:
	s_add_u32 s40, s38, 31                                     // 0000000061E8: 80289F26
	s_lshr_b32 s40, s40, 5                                     // 0000000061EC: 8F288528
	s_and_b32 s40, 1, s40                                      // 0000000061F0: 86282881
	s_cmp_lt_i32 s40, 1                                        // 0000000061F4: BF048128
	s_cbranch_scc0 label_0C73                                  // 0000000061F8: BF8400B4
	s_waitcnt vmcnt(4)                                         // 0000000061FC: BF8C0F74
	s_barrier                                                  // 000000006200: BF8A0000
	v_perm_b32 v232, v229, v228, s50                           // 000000006204: D1ED00E8 00CBC9E5
	v_perm_b32 v234, v229, v228, s49                           // 00000000620C: D1ED00EA 00C7C9E5
	v_perm_b32 v233, v231, v230, s50                           // 000000006214: D1ED00E9 00CBCDE7
	v_perm_b32 v235, v231, v230, s49                           // 00000000621C: D1ED00EB 00C7CDE7
	ds_write_b64 v14, v[232:233] offset:17408                  // 000000006224: D89A4400 0000E80E
	ds_write_b64 v14, v[234:235] offset:21568                  // 00000000622C: D89A5440 0000EA0E
	s_waitcnt lgkmcnt(0)                                       // 000000006234: BF8CC07F
	s_barrier                                                  // 000000006238: BF8A0000
	ds_read_b64 v[192:193], v13 offset:17408                   // 00000000623C: D8EC4400 C000000D
	ds_read_b64 v[194:195], v13 offset:18432                   // 000000006244: D8EC4800 C200000D
	ds_read_b64 v[196:197], v13 offset:19456                   // 00000000624C: D8EC4C00 C400000D
	ds_read_b64 v[198:199], v13 offset:20480                   // 000000006254: D8EC5000 C600000D
	ds_read_b64 v[200:201], v13 offset:17536                   // 00000000625C: D8EC4480 C800000D
	ds_read_b64 v[202:203], v13 offset:18560                   // 000000006264: D8EC4880 CA00000D
	ds_read_b64 v[204:205], v13 offset:19584                   // 00000000626C: D8EC4C80 CC00000D
	ds_read_b64 v[206:207], v13 offset:20608                   // 000000006274: D8EC5080 CE00000D
	ds_read_b64 v[208:209], v13 offset:17664                   // 00000000627C: D8EC4500 D000000D
	ds_read_b64 v[210:211], v13 offset:18688                   // 000000006284: D8EC4900 D200000D
	ds_read_b64 v[212:213], v13 offset:19712                   // 00000000628C: D8EC4D00 D400000D
	ds_read_b64 v[214:215], v13 offset:20736                   // 000000006294: D8EC5100 D600000D
	ds_read_b64 v[216:217], v13 offset:17792                   // 00000000629C: D8EC4580 D800000D
	ds_read_b64 v[218:219], v13 offset:18816                   // 0000000062A4: D8EC4980 DA00000D
	ds_read_b64 v[220:221], v13 offset:19840                   // 0000000062AC: D8EC4D80 DC00000D
	ds_read_b64 v[222:223], v13 offset:20864                   // 0000000062B4: D8EC5180 DE00000D
	v_exp_f32_e32 v95, v95                                     // 0000000062BC: 7EBE415F
	v_mul_f32_e32 v22, v20, v22                                // 0000000062C0: 0A2C2D14
	v_add_f32_e32 v38, v81, v80                                // 0000000062C4: 024CA151
	v_add_f32_e32 v38, v82, v38                                // 0000000062C8: 024C4D52
	v_add_f32_e32 v38, v83, v38                                // 0000000062CC: 024C4D53
	v_add_f32_e32 v38, v84, v38                                // 0000000062D0: 024C4D54
	v_add_f32_e32 v38, v85, v38                                // 0000000062D4: 024C4D55
	v_add_f32_e32 v38, v86, v38                                // 0000000062D8: 024C4D56
	v_add_f32_e32 v38, v87, v38                                // 0000000062DC: 024C4D57
	v_add_f32_e32 v38, v88, v38                                // 0000000062E0: 024C4D58
	v_add_f32_e32 v38, v89, v38                                // 0000000062E4: 024C4D59
	v_add_f32_e32 v38, v90, v38                                // 0000000062E8: 024C4D5A
	v_add_f32_e32 v38, v91, v38                                // 0000000062EC: 024C4D5B
	v_add_f32_e32 v38, v92, v38                                // 0000000062F0: 024C4D5C
	v_add_f32_e32 v38, v93, v38                                // 0000000062F4: 024C4D5D
	v_add_f32_e32 v38, v94, v38                                // 0000000062F8: 024C4D5E
	v_add_f32_e32 v38, v95, v38                                // 0000000062FC: 024C4D5F
	v_add_f32_e32 v22, v38, v22                                // 000000006300: 022C2D26
	v_mul_f32_e32 v96, v20, v96                                // 000000006304: 0AC0C114
	v_mul_f32_e32 v97, v20, v97                                // 000000006308: 0AC2C314
	v_mul_f32_e32 v98, v20, v98                                // 00000000630C: 0AC4C514
	v_mul_f32_e32 v99, v20, v99                                // 000000006310: 0AC6C714
	v_mul_f32_e32 v100, v20, v100                              // 000000006314: 0AC8C914
	v_mul_f32_e32 v101, v20, v101                              // 000000006318: 0ACACB14
	v_mul_f32_e32 v102, v20, v102                              // 00000000631C: 0ACCCD14
	v_mul_f32_e32 v103, v20, v103                              // 000000006320: 0ACECF14
	v_mul_f32_e32 v104, v20, v104                              // 000000006324: 0AD0D114
	v_mul_f32_e32 v105, v20, v105                              // 000000006328: 0AD2D314
	v_mul_f32_e32 v106, v20, v106                              // 00000000632C: 0AD4D514
	v_mul_f32_e32 v107, v20, v107                              // 000000006330: 0AD6D714
	v_mul_f32_e32 v108, v20, v108                              // 000000006334: 0AD8D914
	v_mul_f32_e32 v109, v20, v109                              // 000000006338: 0ADADB14
	v_mul_f32_e32 v110, v20, v110                              // 00000000633C: 0ADCDD14
	v_mul_f32_e32 v111, v20, v111                              // 000000006340: 0ADEDF14
	v_mul_f32_e32 v112, v20, v112                              // 000000006344: 0AE0E114
	v_mul_f32_e32 v113, v20, v113                              // 000000006348: 0AE2E314
	v_mul_f32_e32 v114, v20, v114                              // 00000000634C: 0AE4E514
	v_mul_f32_e32 v115, v20, v115                              // 000000006350: 0AE6E714
	v_mul_f32_e32 v116, v20, v116                              // 000000006354: 0AE8E914
	v_mul_f32_e32 v117, v20, v117                              // 000000006358: 0AEAEB14
	v_mul_f32_e32 v118, v20, v118                              // 00000000635C: 0AECED14
	v_mul_f32_e32 v119, v20, v119                              // 000000006360: 0AEEEF14
	v_mul_f32_e32 v120, v20, v120                              // 000000006364: 0AF0F114
	v_mul_f32_e32 v121, v20, v121                              // 000000006368: 0AF2F314
	v_mul_f32_e32 v122, v20, v122                              // 00000000636C: 0AF4F514
	v_mul_f32_e32 v123, v20, v123                              // 000000006370: 0AF6F714
	v_mul_f32_e32 v124, v20, v124                              // 000000006374: 0AF8F914
	v_mul_f32_e32 v125, v20, v125                              // 000000006378: 0AFAFB14
	v_mul_f32_e32 v126, v20, v126                              // 00000000637C: 0AFCFD14
	v_mul_f32_e32 v127, v20, v127                              // 000000006380: 0AFEFF14
	v_mul_f32_e32 v128, v20, v128                              // 000000006384: 0B010114
	v_mul_f32_e32 v129, v20, v129                              // 000000006388: 0B030314
	v_mul_f32_e32 v130, v20, v130                              // 00000000638C: 0B050514
	v_mul_f32_e32 v131, v20, v131                              // 000000006390: 0B070714
	v_mul_f32_e32 v132, v20, v132                              // 000000006394: 0B090914
	v_mul_f32_e32 v133, v20, v133                              // 000000006398: 0B0B0B14
	v_mul_f32_e32 v134, v20, v134                              // 00000000639C: 0B0D0D14
	v_mul_f32_e32 v135, v20, v135                              // 0000000063A0: 0B0F0F14
	v_mul_f32_e32 v136, v20, v136                              // 0000000063A4: 0B111114
	v_mul_f32_e32 v137, v20, v137                              // 0000000063A8: 0B131314
	v_mul_f32_e32 v138, v20, v138                              // 0000000063AC: 0B151514
	v_mul_f32_e32 v139, v20, v139                              // 0000000063B0: 0B171714
	v_mul_f32_e32 v140, v20, v140                              // 0000000063B4: 0B191914
	v_mul_f32_e32 v141, v20, v141                              // 0000000063B8: 0B1B1B14
	v_mul_f32_e32 v142, v20, v142                              // 0000000063BC: 0B1D1D14
	v_mul_f32_e32 v143, v20, v143                              // 0000000063C0: 0B1F1F14
	v_mul_f32_e32 v144, v20, v144                              // 0000000063C4: 0B212114
	v_mul_f32_e32 v145, v20, v145                              // 0000000063C8: 0B232314
	v_mul_f32_e32 v146, v20, v146                              // 0000000063CC: 0B252514
	v_mul_f32_e32 v147, v20, v147                              // 0000000063D0: 0B272714
	v_mul_f32_e32 v148, v20, v148                              // 0000000063D4: 0B292914
	v_mul_f32_e32 v149, v20, v149                              // 0000000063D8: 0B2B2B14
	v_mul_f32_e32 v150, v20, v150                              // 0000000063DC: 0B2D2D14
	v_mul_f32_e32 v151, v20, v151                              // 0000000063E0: 0B2F2F14
	v_mul_f32_e32 v152, v20, v152                              // 0000000063E4: 0B313114
	v_mul_f32_e32 v153, v20, v153                              // 0000000063E8: 0B333314
	v_mul_f32_e32 v154, v20, v154                              // 0000000063EC: 0B353514
	v_mul_f32_e32 v155, v20, v155                              // 0000000063F0: 0B373714
	v_mul_f32_e32 v156, v20, v156                              // 0000000063F4: 0B393914
	v_mul_f32_e32 v157, v20, v157                              // 0000000063F8: 0B3B3B14
	v_mul_f32_e32 v158, v20, v158                              // 0000000063FC: 0B3D3D14
	v_mul_f32_e32 v159, v20, v159                              // 000000006400: 0B3F3F14
	v_perm_b32 v80, v81, v80, s49                              // 000000006404: D1ED0050 00C6A151
	v_perm_b32 v81, v83, v82, s49                              // 00000000640C: D1ED0051 00C6A553
	v_perm_b32 v82, v85, v84, s49                              // 000000006414: D1ED0052 00C6A955
	v_perm_b32 v83, v87, v86, s49                              // 00000000641C: D1ED0053 00C6AD57
	v_perm_b32 v84, v89, v88, s49                              // 000000006424: D1ED0054 00C6B159
	v_perm_b32 v85, v91, v90, s49                              // 00000000642C: D1ED0055 00C6B55B
	v_perm_b32 v86, v93, v92, s49                              // 000000006434: D1ED0056 00C6B95D
	v_perm_b32 v87, v95, v94, s49                              // 00000000643C: D1ED0057 00C6BD5F
	s_waitcnt lgkmcnt(0)                                       // 000000006444: BF8CC07F
	v_mfma_f32_32x32x8_bf16 v[96:111], v[192:193], v[80:81], v[96:111]// 000000006448: D3E00060 0582A1C0
	v_mfma_f32_32x32x8_bf16 v[96:111], v[194:195], v[82:83], v[96:111]// 000000006450: D3E00060 0582A5C2
	v_mfma_f32_32x32x8_bf16 v[96:111], v[196:197], v[84:85], v[96:111]// 000000006458: D3E00060 0582A9C4
	v_mfma_f32_32x32x8_bf16 v[96:111], v[198:199], v[86:87], v[96:111]// 000000006460: D3E00060 0582ADC6
	v_mfma_f32_32x32x8_bf16 v[112:127], v[200:201], v[80:81], v[112:127]// 000000006468: D3E00070 05C2A1C8
	v_mfma_f32_32x32x8_bf16 v[112:127], v[202:203], v[82:83], v[112:127]// 000000006470: D3E00070 05C2A5CA
	v_mfma_f32_32x32x8_bf16 v[112:127], v[204:205], v[84:85], v[112:127]// 000000006478: D3E00070 05C2A9CC
	v_mfma_f32_32x32x8_bf16 v[112:127], v[206:207], v[86:87], v[112:127]// 000000006480: D3E00070 05C2ADCE
	v_mfma_f32_32x32x8_bf16 v[128:143], v[208:209], v[80:81], v[128:143]// 000000006488: D3E00080 0602A1D0
	v_mfma_f32_32x32x8_bf16 v[128:143], v[210:211], v[82:83], v[128:143]// 000000006490: D3E00080 0602A5D2
	v_mfma_f32_32x32x8_bf16 v[128:143], v[212:213], v[84:85], v[128:143]// 000000006498: D3E00080 0602A9D4
	v_mfma_f32_32x32x8_bf16 v[128:143], v[214:215], v[86:87], v[128:143]// 0000000064A0: D3E00080 0602ADD6
	v_mfma_f32_32x32x8_bf16 v[144:159], v[216:217], v[80:81], v[144:159]// 0000000064A8: D3E00090 0642A1D8
	v_mfma_f32_32x32x8_bf16 v[144:159], v[218:219], v[82:83], v[144:159]// 0000000064B0: D3E00090 0642A5DA
	v_mfma_f32_32x32x8_bf16 v[144:159], v[220:221], v[84:85], v[144:159]// 0000000064B8: D3E00090 0642A9DC
	v_mfma_f32_32x32x8_bf16 v[144:159], v[222:223], v[86:87], v[144:159]// 0000000064C0: D3E00090 0642ADDE
	s_branch label_0D26                                        // 0000000064C8: BF8200B3

00000000000064cc <label_0C73>:
	s_waitcnt vmcnt(4)                                         // 0000000064CC: BF8C0F74
	s_barrier                                                  // 0000000064D0: BF8A0000
	v_perm_b32 v232, v225, v224, s50                           // 0000000064D4: D1ED00E8 00CBC1E1
	v_perm_b32 v234, v225, v224, s49                           // 0000000064DC: D1ED00EA 00C7C1E1
	v_perm_b32 v233, v227, v226, s50                           // 0000000064E4: D1ED00E9 00CBC5E3
	v_perm_b32 v235, v227, v226, s49                           // 0000000064EC: D1ED00EB 00C7C5E3
	ds_write_b64 v14, v[232:233] offset:17408                  // 0000000064F4: D89A4400 0000E80E
	ds_write_b64 v14, v[234:235] offset:21568                  // 0000000064FC: D89A5440 0000EA0E
	s_waitcnt lgkmcnt(0)                                       // 000000006504: BF8CC07F
	s_barrier                                                  // 000000006508: BF8A0000
	ds_read_b64 v[192:193], v13 offset:17408                   // 00000000650C: D8EC4400 C000000D
	ds_read_b64 v[194:195], v13 offset:18432                   // 000000006514: D8EC4800 C200000D
	ds_read_b64 v[196:197], v13 offset:19456                   // 00000000651C: D8EC4C00 C400000D
	ds_read_b64 v[198:199], v13 offset:20480                   // 000000006524: D8EC5000 C600000D
	ds_read_b64 v[200:201], v13 offset:17536                   // 00000000652C: D8EC4480 C800000D
	ds_read_b64 v[202:203], v13 offset:18560                   // 000000006534: D8EC4880 CA00000D
	ds_read_b64 v[204:205], v13 offset:19584                   // 00000000653C: D8EC4C80 CC00000D
	ds_read_b64 v[206:207], v13 offset:20608                   // 000000006544: D8EC5080 CE00000D
	ds_read_b64 v[208:209], v13 offset:17664                   // 00000000654C: D8EC4500 D000000D
	ds_read_b64 v[210:211], v13 offset:18688                   // 000000006554: D8EC4900 D200000D
	ds_read_b64 v[212:213], v13 offset:19712                   // 00000000655C: D8EC4D00 D400000D
	ds_read_b64 v[214:215], v13 offset:20736                   // 000000006564: D8EC5100 D600000D
	ds_read_b64 v[216:217], v13 offset:17792                   // 00000000656C: D8EC4580 D800000D
	ds_read_b64 v[218:219], v13 offset:18816                   // 000000006574: D8EC4980 DA00000D
	ds_read_b64 v[220:221], v13 offset:19840                   // 00000000657C: D8EC4D80 DC00000D
	ds_read_b64 v[222:223], v13 offset:20864                   // 000000006584: D8EC5180 DE00000D
	v_exp_f32_e32 v79, v79                                     // 00000000658C: 7E9E414F
	v_mul_f32_e32 v22, v20, v22                                // 000000006590: 0A2C2D14
	v_add_f32_e32 v38, v65, v64                                // 000000006594: 024C8141
	v_add_f32_e32 v38, v66, v38                                // 000000006598: 024C4D42
	v_add_f32_e32 v38, v67, v38                                // 00000000659C: 024C4D43
	v_add_f32_e32 v38, v68, v38                                // 0000000065A0: 024C4D44
	v_add_f32_e32 v38, v69, v38                                // 0000000065A4: 024C4D45
	v_add_f32_e32 v38, v70, v38                                // 0000000065A8: 024C4D46
	v_add_f32_e32 v38, v71, v38                                // 0000000065AC: 024C4D47
	v_add_f32_e32 v38, v72, v38                                // 0000000065B0: 024C4D48
	v_add_f32_e32 v38, v73, v38                                // 0000000065B4: 024C4D49
	v_add_f32_e32 v38, v74, v38                                // 0000000065B8: 024C4D4A
	v_add_f32_e32 v38, v75, v38                                // 0000000065BC: 024C4D4B
	v_add_f32_e32 v38, v76, v38                                // 0000000065C0: 024C4D4C
	v_add_f32_e32 v38, v77, v38                                // 0000000065C4: 024C4D4D
	v_add_f32_e32 v38, v78, v38                                // 0000000065C8: 024C4D4E
	v_add_f32_e32 v38, v79, v38                                // 0000000065CC: 024C4D4F
	v_add_f32_e32 v22, v38, v22                                // 0000000065D0: 022C2D26
	v_mul_f32_e32 v96, v20, v96                                // 0000000065D4: 0AC0C114
	v_mul_f32_e32 v97, v20, v97                                // 0000000065D8: 0AC2C314
	v_mul_f32_e32 v98, v20, v98                                // 0000000065DC: 0AC4C514
	v_mul_f32_e32 v99, v20, v99                                // 0000000065E0: 0AC6C714
	v_mul_f32_e32 v100, v20, v100                              // 0000000065E4: 0AC8C914
	v_mul_f32_e32 v101, v20, v101                              // 0000000065E8: 0ACACB14
	v_mul_f32_e32 v102, v20, v102                              // 0000000065EC: 0ACCCD14
	v_mul_f32_e32 v103, v20, v103                              // 0000000065F0: 0ACECF14
	v_mul_f32_e32 v104, v20, v104                              // 0000000065F4: 0AD0D114
	v_mul_f32_e32 v105, v20, v105                              // 0000000065F8: 0AD2D314
	v_mul_f32_e32 v106, v20, v106                              // 0000000065FC: 0AD4D514
	v_mul_f32_e32 v107, v20, v107                              // 000000006600: 0AD6D714
	v_mul_f32_e32 v108, v20, v108                              // 000000006604: 0AD8D914
	v_mul_f32_e32 v109, v20, v109                              // 000000006608: 0ADADB14
	v_mul_f32_e32 v110, v20, v110                              // 00000000660C: 0ADCDD14
	v_mul_f32_e32 v111, v20, v111                              // 000000006610: 0ADEDF14
	v_mul_f32_e32 v112, v20, v112                              // 000000006614: 0AE0E114
	v_mul_f32_e32 v113, v20, v113                              // 000000006618: 0AE2E314
	v_mul_f32_e32 v114, v20, v114                              // 00000000661C: 0AE4E514
	v_mul_f32_e32 v115, v20, v115                              // 000000006620: 0AE6E714
	v_mul_f32_e32 v116, v20, v116                              // 000000006624: 0AE8E914
	v_mul_f32_e32 v117, v20, v117                              // 000000006628: 0AEAEB14
	v_mul_f32_e32 v118, v20, v118                              // 00000000662C: 0AECED14
	v_mul_f32_e32 v119, v20, v119                              // 000000006630: 0AEEEF14
	v_mul_f32_e32 v120, v20, v120                              // 000000006634: 0AF0F114
	v_mul_f32_e32 v121, v20, v121                              // 000000006638: 0AF2F314
	v_mul_f32_e32 v122, v20, v122                              // 00000000663C: 0AF4F514
	v_mul_f32_e32 v123, v20, v123                              // 000000006640: 0AF6F714
	v_mul_f32_e32 v124, v20, v124                              // 000000006644: 0AF8F914
	v_mul_f32_e32 v125, v20, v125                              // 000000006648: 0AFAFB14
	v_mul_f32_e32 v126, v20, v126                              // 00000000664C: 0AFCFD14
	v_mul_f32_e32 v127, v20, v127                              // 000000006650: 0AFEFF14
	v_mul_f32_e32 v128, v20, v128                              // 000000006654: 0B010114
	v_mul_f32_e32 v129, v20, v129                              // 000000006658: 0B030314
	v_mul_f32_e32 v130, v20, v130                              // 00000000665C: 0B050514
	v_mul_f32_e32 v131, v20, v131                              // 000000006660: 0B070714
	v_mul_f32_e32 v132, v20, v132                              // 000000006664: 0B090914
	v_mul_f32_e32 v133, v20, v133                              // 000000006668: 0B0B0B14
	v_mul_f32_e32 v134, v20, v134                              // 00000000666C: 0B0D0D14
	v_mul_f32_e32 v135, v20, v135                              // 000000006670: 0B0F0F14
	v_mul_f32_e32 v136, v20, v136                              // 000000006674: 0B111114
	v_mul_f32_e32 v137, v20, v137                              // 000000006678: 0B131314
	v_mul_f32_e32 v138, v20, v138                              // 00000000667C: 0B151514
	v_mul_f32_e32 v139, v20, v139                              // 000000006680: 0B171714
	v_mul_f32_e32 v140, v20, v140                              // 000000006684: 0B191914
	v_mul_f32_e32 v141, v20, v141                              // 000000006688: 0B1B1B14
	v_mul_f32_e32 v142, v20, v142                              // 00000000668C: 0B1D1D14
	v_mul_f32_e32 v143, v20, v143                              // 000000006690: 0B1F1F14
	v_mul_f32_e32 v144, v20, v144                              // 000000006694: 0B212114
	v_mul_f32_e32 v145, v20, v145                              // 000000006698: 0B232314
	v_mul_f32_e32 v146, v20, v146                              // 00000000669C: 0B252514
	v_mul_f32_e32 v147, v20, v147                              // 0000000066A0: 0B272714
	v_mul_f32_e32 v148, v20, v148                              // 0000000066A4: 0B292914
	v_mul_f32_e32 v149, v20, v149                              // 0000000066A8: 0B2B2B14
	v_mul_f32_e32 v150, v20, v150                              // 0000000066AC: 0B2D2D14
	v_mul_f32_e32 v151, v20, v151                              // 0000000066B0: 0B2F2F14
	v_mul_f32_e32 v152, v20, v152                              // 0000000066B4: 0B313114
	v_mul_f32_e32 v153, v20, v153                              // 0000000066B8: 0B333314
	v_mul_f32_e32 v154, v20, v154                              // 0000000066BC: 0B353514
	v_mul_f32_e32 v155, v20, v155                              // 0000000066C0: 0B373714
	v_mul_f32_e32 v156, v20, v156                              // 0000000066C4: 0B393914
	v_mul_f32_e32 v157, v20, v157                              // 0000000066C8: 0B3B3B14
	v_mul_f32_e32 v158, v20, v158                              // 0000000066CC: 0B3D3D14
	v_mul_f32_e32 v159, v20, v159                              // 0000000066D0: 0B3F3F14
	v_perm_b32 v64, v65, v64, s49                              // 0000000066D4: D1ED0040 00C68141
	v_perm_b32 v65, v67, v66, s49                              // 0000000066DC: D1ED0041 00C68543
	v_perm_b32 v66, v69, v68, s49                              // 0000000066E4: D1ED0042 00C68945
	v_perm_b32 v67, v71, v70, s49                              // 0000000066EC: D1ED0043 00C68D47
	v_perm_b32 v68, v73, v72, s49                              // 0000000066F4: D1ED0044 00C69149
	v_perm_b32 v69, v75, v74, s49                              // 0000000066FC: D1ED0045 00C6954B
	v_perm_b32 v70, v77, v76, s49                              // 000000006704: D1ED0046 00C6994D
	v_perm_b32 v71, v79, v78, s49                              // 00000000670C: D1ED0047 00C69D4F
	s_waitcnt lgkmcnt(0)                                       // 000000006714: BF8CC07F
	v_mfma_f32_32x32x8_bf16 v[96:111], v[192:193], v[64:65], v[96:111]// 000000006718: D3E00060 058281C0
	v_mfma_f32_32x32x8_bf16 v[96:111], v[194:195], v[66:67], v[96:111]// 000000006720: D3E00060 058285C2
	v_mfma_f32_32x32x8_bf16 v[96:111], v[196:197], v[68:69], v[96:111]// 000000006728: D3E00060 058289C4
	v_mfma_f32_32x32x8_bf16 v[96:111], v[198:199], v[70:71], v[96:111]// 000000006730: D3E00060 05828DC6
	v_mfma_f32_32x32x8_bf16 v[112:127], v[200:201], v[64:65], v[112:127]// 000000006738: D3E00070 05C281C8
	v_mfma_f32_32x32x8_bf16 v[112:127], v[202:203], v[66:67], v[112:127]// 000000006740: D3E00070 05C285CA
	v_mfma_f32_32x32x8_bf16 v[112:127], v[204:205], v[68:69], v[112:127]// 000000006748: D3E00070 05C289CC
	v_mfma_f32_32x32x8_bf16 v[112:127], v[206:207], v[70:71], v[112:127]// 000000006750: D3E00070 05C28DCE
	v_mfma_f32_32x32x8_bf16 v[128:143], v[208:209], v[64:65], v[128:143]// 000000006758: D3E00080 060281D0
	v_mfma_f32_32x32x8_bf16 v[128:143], v[210:211], v[66:67], v[128:143]// 000000006760: D3E00080 060285D2
	v_mfma_f32_32x32x8_bf16 v[128:143], v[212:213], v[68:69], v[128:143]// 000000006768: D3E00080 060289D4
	v_mfma_f32_32x32x8_bf16 v[128:143], v[214:215], v[70:71], v[128:143]// 000000006770: D3E00080 06028DD6
	v_mfma_f32_32x32x8_bf16 v[144:159], v[216:217], v[64:65], v[144:159]// 000000006778: D3E00090 064281D8
	v_mfma_f32_32x32x8_bf16 v[144:159], v[218:219], v[66:67], v[144:159]// 000000006780: D3E00090 064285DA
	v_mfma_f32_32x32x8_bf16 v[144:159], v[220:221], v[68:69], v[144:159]// 000000006788: D3E00090 064289DC
	v_mfma_f32_32x32x8_bf16 v[144:159], v[222:223], v[70:71], v[144:159]// 000000006790: D3E00090 06428DDE

0000000000006798 <label_0D26>:
	v_cvt_f32_u32_e32 v16, s62                                 // 000000006798: 7E200C3E
	s_sub_i32 s40, 0, s62                                      // 00000000679C: 81A83E80
	v_rcp_iflag_f32_e32 v16, v16                               // 0000000067A0: 7E204710
	s_nop 0                                                    // 0000000067A4: BF800000
	v_mul_f32_e32 v16, 0x4f7ffffe, v16                         // 0000000067A8: 0A2020FF 4F7FFFFE
	v_cvt_u32_f32_e32 v16, v16                                 // 0000000067B0: 7E200F10
	v_mul_lo_u32 v17, s40, v16                                 // 0000000067B4: D2850011 00022028
	v_mul_hi_u32 v17, v16, v17                                 // 0000000067BC: D2860011 00022310
	v_add_u32_e32 v16, v16, v17                                // 0000000067C4: 68202310
	v_mul_hi_u32 v16, s63, v16                                 // 0000000067C8: D2860010 0002203F
	v_mul_lo_u32 v17, v16, s62                                 // 0000000067D0: D2850011 00007D10
	v_sub_u32_e32 v19, s63, v17                                // 0000000067D8: 6A26223F
	v_add_u32_e32 v18, 1, v16                                  // 0000000067DC: 68242081
	v_cmp_le_u32_e32 vcc, s62, v19                             // 0000000067E0: 7D96263E
	v_subrev_u32_e32 v17, s62, v19                             // 0000000067E4: 6C22263E
	s_nop 0                                                    // 0000000067E8: BF800000
	v_cndmask_b32_e32 v16, v16, v18, vcc                       // 0000000067EC: 00202510
	v_cndmask_b32_e32 v19, v19, v17, vcc                       // 0000000067F0: 00262313
	v_add_u32_e32 v17, 1, v16                                  // 0000000067F4: 68222081
	v_cmp_le_u32_e32 vcc, s62, v19                             // 0000000067F8: 7D96263E
	s_nop 1                                                    // 0000000067FC: BF800001
	v_cndmask_b32_e32 v19, v16, v17, vcc                       // 000000006800: 00262310
	s_nop 3                                                    // 000000006804: BF800003
	v_readfirstlane_b32 s63, v19                               // 000000006808: 7E7E0513
	s_nop 3                                                    // 00000000680C: BF800003
	s_mul_i32 s63, s63, s83                                    // 000000006810: 923F533F
	v_lshrrev_b32_e32 v16, 3, v0                               // 000000006814: 20200083
	v_mul_i32_i24_e32 v8, s83, v16                             // 000000006818: 0C102053
	v_and_b32_e32 v16, 7, v0                                   // 00000000681C: 26200087
	v_mul_i32_i24_e32 v16, 16, v16                             // 000000006820: 0C202090
	v_add_u32_e32 v8, v16, v8                                  // 000000006824: 68101110
	s_mul_i32 s40, s5, s83                                     // 000000006828: 92285305
	s_mul_i32 s40, s40, 32                                     // 00000000682C: 9228A028
	s_add_u32 s40, s63, s40                                    // 000000006830: 8028283F
	v_add_u32_e32 v8, s40, v8                                  // 000000006834: 68101028
	s_mul_i32 s40, s83, 8                                      // 000000006838: 92288853
	v_add_u32_e32 v9, s40, v8                                  // 00000000683C: 68121028
	v_add_u32_e32 v10, s40, v9                                 // 000000006840: 68141228
	v_add_u32_e32 v11, s40, v10                                // 000000006844: 68161428
	s_mul_i32 s40, s2, 0x100                                   // 000000006848: 9228FF02 00000100
	v_and_b32_e32 v3, 31, v0                                   // 000000006850: 2606009F
	v_add_u32_e32 v3, s40, v3                                  // 000000006854: 68060628
	s_mul_i32 s40, s5, 32                                      // 000000006858: 9228A005
	v_add_u32_e32 v3, s40, v3                                  // 00000000685C: 68060628
	v_lshlrev_b32_e32 v3, 2, v3                                // 000000006860: 24060682
	ds_permute_b32 v16, v32, v22                               // 000000006864: D87C0000 10001620
	s_waitcnt lgkmcnt(0)                                       // 00000000686C: BF8CC07F
	v_add_f32_e32 v22, v16, v22                                // 000000006870: 022C2D10
	v_mul_f32_e64 v16, v28, s28                                // 000000006874: D1050010 0000391C
	v_log_f32_e32 v17, v22                                     // 00000000687C: 7E224316
	v_cmp_eq_f32_e64 s[40:41], v22, 0                          // 000000006880: D0420028 00010116
	s_nop 1                                                    // 000000006888: BF800001
	v_rcp_f32_e32 v22, v22                                     // 00000000688C: 7E2C4516
	s_nop 1                                                    // 000000006890: BF800001
	v_cndmask_b32_e64 v22, v22, 0, s[40:41]                    // 000000006894: D1000016 00A10116
	v_fma_f32 v2, v17, s45, v16                                // 00000000689C: D1CB0002 04405B11
	v_mov_b32_e32 v23, v22                                     // 0000000068A4: 7E2E0316
	v_lshrrev_b32_e32 v16, 5, v0                               // 0000000068A8: 20200085
	v_mul_i32_i24_e32 v35, 0x42, v16                           // 0000000068AC: 0C4620FF 00000042
	v_and_b32_e32 v16, 31, v0                                  // 0000000068B4: 2620009F
	v_mul_i32_i24_e32 v16, 2, v16                              // 0000000068B8: 0C202082
	v_add_u32_e32 v35, v16, v35                                // 0000000068BC: 68464710
	s_mul_i32 s40, s5, 0x420                                   // 0000000068C0: 9228FF05 00000420
	v_add_u32_e32 v35, s40, v35                                // 0000000068C8: 68464628
	v_lshlrev_b32_e32 v35, 2, v35                              // 0000000068CC: 24464682
	v_lshrrev_b32_e32 v16, 3, v0                               // 0000000068D0: 20200083
	v_mul_i32_i24_e32 v34, 2, v16                              // 0000000068D4: 0C442082
	v_and_b32_e32 v16, 7, v0                                   // 0000000068D8: 26200087
	v_mul_i32_i24_e32 v16, 0x84, v16                           // 0000000068DC: 0C2020FF 00000084
	v_add_u32_e32 v34, v16, v34                                // 0000000068E4: 68444510
	s_mul_i32 s40, s5, 0x420                                   // 0000000068E8: 9228FF05 00000420
	v_add_u32_e32 v34, s40, v34                                // 0000000068F0: 68444428
	v_lshlrev_b32_e32 v34, 2, v34                              // 0000000068F4: 24444482
	s_waitcnt vmcnt(0) expcnt(0) lgkmcnt(0)                    // 0000000068F8: BF8C0000
	s_barrier                                                  // 0000000068FC: BF8A0000
	v_pk_mul_f32 v[96:97], v[22:23], v[96:97]                  // 000000006900: D3B14060 1802C116
	v_pk_mul_f32 v[98:99], v[22:23], v[98:99]                  // 000000006908: D3B14062 1802C516
	v_pk_mul_f32 v[100:101], v[22:23], v[100:101]              // 000000006910: D3B14064 1802C916
	v_pk_mul_f32 v[102:103], v[22:23], v[102:103]              // 000000006918: D3B14066 1802CD16
	v_pk_mul_f32 v[104:105], v[22:23], v[104:105]              // 000000006920: D3B14068 1802D116
	v_pk_mul_f32 v[106:107], v[22:23], v[106:107]              // 000000006928: D3B1406A 1802D516
	v_pk_mul_f32 v[108:109], v[22:23], v[108:109]              // 000000006930: D3B1406C 1802D916
	v_pk_mul_f32 v[110:111], v[22:23], v[110:111]              // 000000006938: D3B1406E 1802DD16
	v_pk_mul_f32 v[112:113], v[22:23], v[112:113]              // 000000006940: D3B14070 1802E116
	v_pk_mul_f32 v[114:115], v[22:23], v[114:115]              // 000000006948: D3B14072 1802E516
	v_pk_mul_f32 v[116:117], v[22:23], v[116:117]              // 000000006950: D3B14074 1802E916
	v_pk_mul_f32 v[118:119], v[22:23], v[118:119]              // 000000006958: D3B14076 1802ED16
	v_pk_mul_f32 v[120:121], v[22:23], v[120:121]              // 000000006960: D3B14078 1802F116
	v_pk_mul_f32 v[122:123], v[22:23], v[122:123]              // 000000006968: D3B1407A 1802F516
	v_pk_mul_f32 v[124:125], v[22:23], v[124:125]              // 000000006970: D3B1407C 1802F916
	v_pk_mul_f32 v[126:127], v[22:23], v[126:127]              // 000000006978: D3B1407E 1802FD16
	v_perm_b32 v96, v97, v96, s49                              // 000000006980: D1ED0060 00C6C161
	v_perm_b32 v97, v99, v98, s49                              // 000000006988: D1ED0061 00C6C563
	v_perm_b32 v98, v101, v100, s49                            // 000000006990: D1ED0062 00C6C965
	v_perm_b32 v99, v103, v102, s49                            // 000000006998: D1ED0063 00C6CD67
	v_perm_b32 v100, v105, v104, s49                           // 0000000069A0: D1ED0064 00C6D169
	v_perm_b32 v101, v107, v106, s49                           // 0000000069A8: D1ED0065 00C6D56B
	v_perm_b32 v102, v109, v108, s49                           // 0000000069B0: D1ED0066 00C6D96D
	v_perm_b32 v103, v111, v110, s49                           // 0000000069B8: D1ED0067 00C6DD6F
	v_perm_b32 v104, v113, v112, s49                           // 0000000069C0: D1ED0068 00C6E171
	v_perm_b32 v105, v115, v114, s49                           // 0000000069C8: D1ED0069 00C6E573
	v_perm_b32 v106, v117, v116, s49                           // 0000000069D0: D1ED006A 00C6E975
	v_perm_b32 v107, v119, v118, s49                           // 0000000069D8: D1ED006B 00C6ED77
	v_perm_b32 v108, v121, v120, s49                           // 0000000069E0: D1ED006C 00C6F179
	v_perm_b32 v109, v123, v122, s49                           // 0000000069E8: D1ED006D 00C6F57B
	v_perm_b32 v110, v125, v124, s49                           // 0000000069F0: D1ED006E 00C6F97D
	v_perm_b32 v111, v127, v126, s49                           // 0000000069F8: D1ED006F 00C6FD7F
	ds_write_b64 v35, v[96:97]                                 // 000000006A00: D89A0000 00006023
	ds_write_b64 v35, v[98:99] offset:528                      // 000000006A08: D89A0210 00006223
	ds_write_b64 v35, v[100:101] offset:1056                   // 000000006A10: D89A0420 00006423
	ds_write_b64 v35, v[102:103] offset:1584                   // 000000006A18: D89A0630 00006623
	ds_write_b64 v35, v[104:105] offset:2112                   // 000000006A20: D89A0840 00006823
	ds_write_b64 v35, v[106:107] offset:2640                   // 000000006A28: D89A0A50 00006A23
	ds_write_b64 v35, v[108:109] offset:3168                   // 000000006A30: D89A0C60 00006C23
	ds_write_b64 v35, v[110:111] offset:3696                   // 000000006A38: D89A0E70 00006E23
	s_waitcnt vmcnt(0) expcnt(0) lgkmcnt(0)                    // 000000006A40: BF8C0000
	ds_read_b64 v[96:97], v34                                  // 000000006A44: D8EC0000 60000022
	ds_read_b64 v[98:99], v34 offset:264                       // 000000006A4C: D8EC0108 62000022
	ds_read_b64 v[100:101], v34 offset:64                      // 000000006A54: D8EC0040 64000022
	ds_read_b64 v[102:103], v34 offset:328                     // 000000006A5C: D8EC0148 66000022
	ds_read_b64 v[104:105], v34 offset:128                     // 000000006A64: D8EC0080 68000022
	ds_read_b64 v[106:107], v34 offset:392                     // 000000006A6C: D8EC0188 6A000022
	ds_read_b64 v[108:109], v34 offset:192                     // 000000006A74: D8EC00C0 6C000022
	ds_read_b64 v[110:111], v34 offset:456                     // 000000006A7C: D8EC01C8 6E000022
	s_waitcnt vmcnt(0) expcnt(0) lgkmcnt(0)                    // 000000006A84: BF8C0000
	buffer_store_dwordx4 v[96:99], v8, s[20:23], 0 offen       // 000000006A88: E07C1000 80056008
	buffer_store_dwordx4 v[100:103], v9, s[20:23], 0 offen     // 000000006A90: E07C1000 80056409
	buffer_store_dwordx4 v[104:107], v10, s[20:23], 0 offen    // 000000006A98: E07C1000 8005680A
	buffer_store_dwordx4 v[108:111], v11, s[20:23], 0 offen    // 000000006AA0: E07C1000 80056C0B
	v_pk_mul_f32 v[128:129], v[22:23], v[128:129]              // 000000006AA8: D3B14080 18030116
	v_pk_mul_f32 v[130:131], v[22:23], v[130:131]              // 000000006AB0: D3B14082 18030516
	v_pk_mul_f32 v[132:133], v[22:23], v[132:133]              // 000000006AB8: D3B14084 18030916
	v_pk_mul_f32 v[134:135], v[22:23], v[134:135]              // 000000006AC0: D3B14086 18030D16
	v_pk_mul_f32 v[136:137], v[22:23], v[136:137]              // 000000006AC8: D3B14088 18031116
	v_pk_mul_f32 v[138:139], v[22:23], v[138:139]              // 000000006AD0: D3B1408A 18031516
	v_pk_mul_f32 v[140:141], v[22:23], v[140:141]              // 000000006AD8: D3B1408C 18031916
	v_pk_mul_f32 v[142:143], v[22:23], v[142:143]              // 000000006AE0: D3B1408E 18031D16
	v_pk_mul_f32 v[144:145], v[22:23], v[144:145]              // 000000006AE8: D3B14090 18032116
	v_pk_mul_f32 v[146:147], v[22:23], v[146:147]              // 000000006AF0: D3B14092 18032516
	v_pk_mul_f32 v[148:149], v[22:23], v[148:149]              // 000000006AF8: D3B14094 18032916
	v_pk_mul_f32 v[150:151], v[22:23], v[150:151]              // 000000006B00: D3B14096 18032D16
	v_pk_mul_f32 v[152:153], v[22:23], v[152:153]              // 000000006B08: D3B14098 18033116
	v_pk_mul_f32 v[154:155], v[22:23], v[154:155]              // 000000006B10: D3B1409A 18033516
	v_pk_mul_f32 v[156:157], v[22:23], v[156:157]              // 000000006B18: D3B1409C 18033916
	v_pk_mul_f32 v[158:159], v[22:23], v[158:159]              // 000000006B20: D3B1409E 18033D16
	v_perm_b32 v128, v129, v128, s49                           // 000000006B28: D1ED0080 00C70181
	v_perm_b32 v129, v131, v130, s49                           // 000000006B30: D1ED0081 00C70583
	v_perm_b32 v130, v133, v132, s49                           // 000000006B38: D1ED0082 00C70985
	v_perm_b32 v131, v135, v134, s49                           // 000000006B40: D1ED0083 00C70D87
	v_perm_b32 v132, v137, v136, s49                           // 000000006B48: D1ED0084 00C71189
	v_perm_b32 v133, v139, v138, s49                           // 000000006B50: D1ED0085 00C7158B
	v_perm_b32 v134, v141, v140, s49                           // 000000006B58: D1ED0086 00C7198D
	v_perm_b32 v135, v143, v142, s49                           // 000000006B60: D1ED0087 00C71D8F
	v_perm_b32 v136, v145, v144, s49                           // 000000006B68: D1ED0088 00C72191
	v_perm_b32 v137, v147, v146, s49                           // 000000006B70: D1ED0089 00C72593
	v_perm_b32 v138, v149, v148, s49                           // 000000006B78: D1ED008A 00C72995
	v_perm_b32 v139, v151, v150, s49                           // 000000006B80: D1ED008B 00C72D97
	v_perm_b32 v140, v153, v152, s49                           // 000000006B88: D1ED008C 00C73199
	v_perm_b32 v141, v155, v154, s49                           // 000000006B90: D1ED008D 00C7359B
	v_perm_b32 v142, v157, v156, s49                           // 000000006B98: D1ED008E 00C7399D
	v_perm_b32 v143, v159, v158, s49                           // 000000006BA0: D1ED008F 00C73D9F
	ds_write_b64 v35, v[128:129]                               // 000000006BA8: D89A0000 00008023
	ds_write_b64 v35, v[130:131] offset:528                    // 000000006BB0: D89A0210 00008223
	ds_write_b64 v35, v[132:133] offset:1056                   // 000000006BB8: D89A0420 00008423
	ds_write_b64 v35, v[134:135] offset:1584                   // 000000006BC0: D89A0630 00008623
	ds_write_b64 v35, v[136:137] offset:2112                   // 000000006BC8: D89A0840 00008823
	ds_write_b64 v35, v[138:139] offset:2640                   // 000000006BD0: D89A0A50 00008A23
	ds_write_b64 v35, v[140:141] offset:3168                   // 000000006BD8: D89A0C60 00008C23
	ds_write_b64 v35, v[142:143] offset:3696                   // 000000006BE0: D89A0E70 00008E23
	s_waitcnt vmcnt(0) expcnt(0) lgkmcnt(0)                    // 000000006BE8: BF8C0000
	ds_read_b64 v[128:129], v34                                // 000000006BEC: D8EC0000 80000022
	ds_read_b64 v[130:131], v34 offset:264                     // 000000006BF4: D8EC0108 82000022
	ds_read_b64 v[132:133], v34 offset:64                      // 000000006BFC: D8EC0040 84000022
	ds_read_b64 v[134:135], v34 offset:328                     // 000000006C04: D8EC0148 86000022
	ds_read_b64 v[136:137], v34 offset:128                     // 000000006C0C: D8EC0080 88000022
	ds_read_b64 v[138:139], v34 offset:392                     // 000000006C14: D8EC0188 8A000022
	ds_read_b64 v[140:141], v34 offset:192                     // 000000006C1C: D8EC00C0 8C000022
	ds_read_b64 v[142:143], v34 offset:456                     // 000000006C24: D8EC01C8 8E000022
	s_waitcnt vmcnt(0) expcnt(0) lgkmcnt(0)                    // 000000006C2C: BF8C0000
	buffer_store_dwordx4 v[128:131], v8, s[20:23], 0 offen offset:128// 000000006C30: E07C1080 80058008
	buffer_store_dwordx4 v[132:135], v9, s[20:23], 0 offen offset:128// 000000006C38: E07C1080 80058409
	buffer_store_dwordx4 v[136:139], v10, s[20:23], 0 offen offset:128// 000000006C40: E07C1080 8005880A
	buffer_store_dwordx4 v[140:143], v11, s[20:23], 0 offen offset:128// 000000006C48: E07C1080 80058C0B
	s_cmp_eq_u32 s37, 0                                        // 000000006C50: BF068025
	s_cbranch_scc1 label_0E5C                                  // 000000006C54: BF850006
	v_cmp_ge_f32_e64 s[40:41], v2, v31                         // 000000006C58: D0460028 00023F02
	v_cndmask_b32_e64 v2, v31, v2, s[40:41]                    // 000000006C60: D1000002 00A2051F
	buffer_store_dword v2, v3, s[24:27], 0 offen               // 000000006C68: E0701000 80060203

0000000000006c70 <label_0E5C>:
	s_waitcnt vmcnt(0) expcnt(0) lgkmcnt(0)                    // 000000006C70: BF8C0000
	s_barrier                                                  // 000000006C74: BF8A0000
	s_addk_i32 s36, 0x1                                        // 000000006C78: B7240001
	s_add_u32 s40, s30, 0xff                                   // 000000006C7C: 8028FF1E 000000FF
	s_lshr_b32 s40, s40, 8                                     // 000000006C84: 8F288828
	s_cmp_lt_u32 s40, 2                                        // 000000006C88: BF0A8228
	s_cselect_b32 s36, 2, s36                                  // 000000006C8C: 85242482
	s_add_u32 s41, s30, 0xff                                   // 000000006C90: 8029FF1E 000000FF
	s_lshr_b32 s40, s41, 8                                     // 000000006C98: 8F288829
	s_sub_u32 s40, s40, 1                                      // 000000006C9C: 80A88128
	s_sub_u32 s2, s40, s2                                      // 000000006CA0: 80820228
	s_mul_i32 s43, 32, s61                                     // 000000006CA4: 922B3DA0
	s_mul_i32 s44, 32, s80                                     // 000000006CA8: 922C50A0
	s_and_b32 s42, 1, s34                                      // 000000006CAC: 862A2281
	s_cmp_lt_i32 s42, 1                                        // 000000006CB0: BF04812A
	s_cbranch_scc1 label_0E81                                  // 000000006CB4: BF850013
	s_lshl_b32 s40, s2, 3                                      // 000000006CB8: 8E288302
	s_add_u32 s40, s40, 7                                      // 000000006CBC: 80288728
	s_sub_i32 s41, s7, s30                                     // 000000006CC0: 81A91E07
	s_addk_i32 s41, 0x1f                                       // 000000006CC4: B729001F
	s_ashr_i32 s41, s41, 5                                     // 000000006CC8: 90298529
	s_add_i32 s40, s40, s41                                    // 000000006CCC: 81282928
	s_sub_u32 s41, s7, 1                                       // 000000006CD0: 80A98107
	s_lshr_b32 s41, s41, 5                                     // 000000006CD4: 8F298529
	s_cmp_lt_i32 s40, s41                                      // 000000006CD8: BF042928
	s_cselect_b32 s40, s40, s41                                // 000000006CDC: 85282928
	s_cmp_lt_i32 s40, 0                                        // 000000006CE0: BF048028
	s_cselect_b32 s40, 0, s40                                  // 000000006CE4: 85282880
	s_mul_i32 s60, s40, s43                                    // 000000006CE8: 923C2B28
	s_mul_i32 s35, s40, s44                                    // 000000006CEC: 92232C28
	s_mul_i32 s52, s40, 32                                     // 000000006CF0: 9234A028
	s_sub_i32 s44, 0, s44                                      // 000000006CF4: 81AC2C80
	s_sub_i32 s43, 0, s43                                      // 000000006CF8: 81AB2B80
	s_sub_i32 s53, 0, s53                                      // 000000006CFC: 81B53580
	s_branch label_0E85                                        // 000000006D00: BF820004

0000000000006d04 <label_0E81>:
	s_mov_b32 s60, 0                                           // 000000006D04: BEBC0080
	s_mov_b32 s35, 0                                           // 000000006D08: BEA30080
	s_mov_b32 s52, 0                                           // 000000006D0C: BEB40080
	s_mov_b32 s53, 32                                          // 000000006D10: BEB500A0

0000000000006d14 <label_0E85>:
	s_cmp_lt_i32 s36, 2                                        // 000000006D14: BF048224
	s_cbranch_scc1 label_00F6                                  // 000000006D18: BF85F26F
	s_waitcnt vmcnt(0) expcnt(0) lgkmcnt(0)                    // 000000006D1C: BF8C0000
	s_endpgm                                                   // 000000006D20: BF810000
